;; amdgpu-corpus repo=ROCm/rocFFT kind=compiled arch=gfx1201 opt=O3
	.text
	.amdgcn_target "amdgcn-amd-amdhsa--gfx1201"
	.amdhsa_code_object_version 6
	.protected	fft_rtc_fwd_len2000_factors_5_5_5_16_wgs_125_tpt_125_halfLds_half_op_CI_CI_unitstride_sbrr_dirReg ; -- Begin function fft_rtc_fwd_len2000_factors_5_5_5_16_wgs_125_tpt_125_halfLds_half_op_CI_CI_unitstride_sbrr_dirReg
	.globl	fft_rtc_fwd_len2000_factors_5_5_5_16_wgs_125_tpt_125_halfLds_half_op_CI_CI_unitstride_sbrr_dirReg
	.p2align	8
	.type	fft_rtc_fwd_len2000_factors_5_5_5_16_wgs_125_tpt_125_halfLds_half_op_CI_CI_unitstride_sbrr_dirReg,@function
fft_rtc_fwd_len2000_factors_5_5_5_16_wgs_125_tpt_125_halfLds_half_op_CI_CI_unitstride_sbrr_dirReg: ; @fft_rtc_fwd_len2000_factors_5_5_5_16_wgs_125_tpt_125_halfLds_half_op_CI_CI_unitstride_sbrr_dirReg
; %bb.0:
	s_clause 0x2
	s_load_b128 s[8:11], s[0:1], 0x0
	s_load_b128 s[4:7], s[0:1], 0x58
	;; [unrolled: 1-line block ×3, first 2 shown]
	v_mul_u32_u24_e32 v1, 0x20d, v0
	v_mov_b32_e32 v8, 0
	v_mov_b32_e32 v6, 0
	;; [unrolled: 1-line block ×3, first 2 shown]
	s_delay_alu instid0(VALU_DEP_4) | instskip(NEXT) | instid1(VALU_DEP_1)
	v_lshrrev_b32_e32 v1, 16, v1
	v_dual_mov_b32 v11, v8 :: v_dual_add_nc_u32 v10, ttmp9, v1
	s_wait_kmcnt 0x0
	v_cmp_lt_u64_e64 s2, s[10:11], 2
	s_delay_alu instid0(VALU_DEP_1)
	s_and_b32 vcc_lo, exec_lo, s2
	s_cbranch_vccnz .LBB0_8
; %bb.1:
	s_load_b64 s[2:3], s[0:1], 0x10
	v_mov_b32_e32 v6, 0
	v_mov_b32_e32 v7, 0
	s_delay_alu instid0(VALU_DEP_2)
	v_mov_b32_e32 v1, v6
	s_add_nc_u64 s[16:17], s[14:15], 8
	s_add_nc_u64 s[18:19], s[12:13], 8
	s_mov_b64 s[20:21], 1
	v_mov_b32_e32 v2, v7
	s_wait_kmcnt 0x0
	s_add_nc_u64 s[22:23], s[2:3], 8
	s_mov_b32 s3, 0
.LBB0_2:                                ; =>This Inner Loop Header: Depth=1
	s_load_b64 s[24:25], s[22:23], 0x0
                                        ; implicit-def: $vgpr3_vgpr4
	s_mov_b32 s2, exec_lo
	s_wait_kmcnt 0x0
	v_or_b32_e32 v9, s25, v11
	s_delay_alu instid0(VALU_DEP_1)
	v_cmpx_ne_u64_e32 0, v[8:9]
	s_wait_alu 0xfffe
	s_xor_b32 s26, exec_lo, s2
	s_cbranch_execz .LBB0_4
; %bb.3:                                ;   in Loop: Header=BB0_2 Depth=1
	s_cvt_f32_u32 s2, s24
	s_cvt_f32_u32 s27, s25
	s_sub_nc_u64 s[30:31], 0, s[24:25]
	s_wait_alu 0xfffe
	s_delay_alu instid0(SALU_CYCLE_1) | instskip(SKIP_1) | instid1(SALU_CYCLE_2)
	s_fmamk_f32 s2, s27, 0x4f800000, s2
	s_wait_alu 0xfffe
	v_s_rcp_f32 s2, s2
	s_delay_alu instid0(TRANS32_DEP_1) | instskip(SKIP_1) | instid1(SALU_CYCLE_2)
	s_mul_f32 s2, s2, 0x5f7ffffc
	s_wait_alu 0xfffe
	s_mul_f32 s27, s2, 0x2f800000
	s_wait_alu 0xfffe
	s_delay_alu instid0(SALU_CYCLE_2) | instskip(SKIP_1) | instid1(SALU_CYCLE_2)
	s_trunc_f32 s27, s27
	s_wait_alu 0xfffe
	s_fmamk_f32 s2, s27, 0xcf800000, s2
	s_cvt_u32_f32 s29, s27
	s_wait_alu 0xfffe
	s_delay_alu instid0(SALU_CYCLE_1) | instskip(SKIP_1) | instid1(SALU_CYCLE_2)
	s_cvt_u32_f32 s28, s2
	s_wait_alu 0xfffe
	s_mul_u64 s[34:35], s[30:31], s[28:29]
	s_wait_alu 0xfffe
	s_mul_hi_u32 s37, s28, s35
	s_mul_i32 s36, s28, s35
	s_mul_hi_u32 s2, s28, s34
	s_mul_i32 s33, s29, s34
	s_wait_alu 0xfffe
	s_add_nc_u64 s[36:37], s[2:3], s[36:37]
	s_mul_hi_u32 s27, s29, s34
	s_mul_hi_u32 s38, s29, s35
	s_add_co_u32 s2, s36, s33
	s_wait_alu 0xfffe
	s_add_co_ci_u32 s2, s37, s27
	s_mul_i32 s34, s29, s35
	s_add_co_ci_u32 s35, s38, 0
	s_wait_alu 0xfffe
	s_add_nc_u64 s[34:35], s[2:3], s[34:35]
	s_wait_alu 0xfffe
	v_add_co_u32 v3, s2, s28, s34
	s_delay_alu instid0(VALU_DEP_1) | instskip(SKIP_1) | instid1(VALU_DEP_1)
	s_cmp_lg_u32 s2, 0
	s_add_co_ci_u32 s29, s29, s35
	v_readfirstlane_b32 s28, v3
	s_wait_alu 0xfffe
	s_delay_alu instid0(VALU_DEP_1)
	s_mul_u64 s[30:31], s[30:31], s[28:29]
	s_wait_alu 0xfffe
	s_mul_hi_u32 s35, s28, s31
	s_mul_i32 s34, s28, s31
	s_mul_hi_u32 s2, s28, s30
	s_mul_i32 s33, s29, s30
	s_wait_alu 0xfffe
	s_add_nc_u64 s[34:35], s[2:3], s[34:35]
	s_mul_hi_u32 s27, s29, s30
	s_mul_hi_u32 s28, s29, s31
	s_wait_alu 0xfffe
	s_add_co_u32 s2, s34, s33
	s_add_co_ci_u32 s2, s35, s27
	s_mul_i32 s30, s29, s31
	s_add_co_ci_u32 s31, s28, 0
	s_wait_alu 0xfffe
	s_add_nc_u64 s[30:31], s[2:3], s[30:31]
	s_wait_alu 0xfffe
	v_add_co_u32 v5, s2, v3, s30
	s_delay_alu instid0(VALU_DEP_1) | instskip(SKIP_1) | instid1(VALU_DEP_1)
	s_cmp_lg_u32 s2, 0
	s_add_co_ci_u32 s2, s29, s31
	v_mul_hi_u32 v9, v10, v5
	s_wait_alu 0xfffe
	v_mad_co_u64_u32 v[3:4], null, v10, s2, 0
	v_mad_co_u64_u32 v[12:13], null, v11, v5, 0
	;; [unrolled: 1-line block ×3, first 2 shown]
	s_delay_alu instid0(VALU_DEP_3) | instskip(SKIP_1) | instid1(VALU_DEP_4)
	v_add_co_u32 v3, vcc_lo, v9, v3
	s_wait_alu 0xfffd
	v_add_co_ci_u32_e32 v4, vcc_lo, 0, v4, vcc_lo
	s_delay_alu instid0(VALU_DEP_2) | instskip(SKIP_1) | instid1(VALU_DEP_2)
	v_add_co_u32 v3, vcc_lo, v3, v12
	s_wait_alu 0xfffd
	v_add_co_ci_u32_e32 v3, vcc_lo, v4, v13, vcc_lo
	s_wait_alu 0xfffd
	v_add_co_ci_u32_e32 v4, vcc_lo, 0, v15, vcc_lo
	s_delay_alu instid0(VALU_DEP_2) | instskip(SKIP_1) | instid1(VALU_DEP_2)
	v_add_co_u32 v5, vcc_lo, v3, v14
	s_wait_alu 0xfffd
	v_add_co_ci_u32_e32 v9, vcc_lo, 0, v4, vcc_lo
	s_delay_alu instid0(VALU_DEP_2) | instskip(SKIP_1) | instid1(VALU_DEP_3)
	v_mul_lo_u32 v12, s25, v5
	v_mad_co_u64_u32 v[3:4], null, s24, v5, 0
	v_mul_lo_u32 v13, s24, v9
	s_delay_alu instid0(VALU_DEP_2) | instskip(NEXT) | instid1(VALU_DEP_2)
	v_sub_co_u32 v3, vcc_lo, v10, v3
	v_add3_u32 v4, v4, v13, v12
	s_delay_alu instid0(VALU_DEP_1) | instskip(SKIP_1) | instid1(VALU_DEP_1)
	v_sub_nc_u32_e32 v12, v11, v4
	s_wait_alu 0xfffd
	v_subrev_co_ci_u32_e64 v12, s2, s25, v12, vcc_lo
	v_add_co_u32 v13, s2, v5, 2
	s_wait_alu 0xf1ff
	v_add_co_ci_u32_e64 v14, s2, 0, v9, s2
	v_sub_co_u32 v15, s2, v3, s24
	v_sub_co_ci_u32_e32 v4, vcc_lo, v11, v4, vcc_lo
	s_wait_alu 0xf1ff
	v_subrev_co_ci_u32_e64 v12, s2, 0, v12, s2
	s_delay_alu instid0(VALU_DEP_3) | instskip(NEXT) | instid1(VALU_DEP_3)
	v_cmp_le_u32_e32 vcc_lo, s24, v15
	v_cmp_eq_u32_e64 s2, s25, v4
	s_wait_alu 0xfffd
	v_cndmask_b32_e64 v15, 0, -1, vcc_lo
	v_cmp_le_u32_e32 vcc_lo, s25, v12
	s_wait_alu 0xfffd
	v_cndmask_b32_e64 v16, 0, -1, vcc_lo
	v_cmp_le_u32_e32 vcc_lo, s24, v3
	;; [unrolled: 3-line block ×3, first 2 shown]
	s_wait_alu 0xfffd
	v_cndmask_b32_e64 v17, 0, -1, vcc_lo
	v_cmp_eq_u32_e32 vcc_lo, s25, v12
	s_wait_alu 0xf1ff
	s_delay_alu instid0(VALU_DEP_2)
	v_cndmask_b32_e64 v3, v17, v3, s2
	s_wait_alu 0xfffd
	v_cndmask_b32_e32 v12, v16, v15, vcc_lo
	v_add_co_u32 v15, vcc_lo, v5, 1
	s_wait_alu 0xfffd
	v_add_co_ci_u32_e32 v16, vcc_lo, 0, v9, vcc_lo
	s_delay_alu instid0(VALU_DEP_3) | instskip(SKIP_2) | instid1(VALU_DEP_3)
	v_cmp_ne_u32_e32 vcc_lo, 0, v12
	s_wait_alu 0xfffd
	v_cndmask_b32_e32 v12, v15, v13, vcc_lo
	v_cndmask_b32_e32 v4, v16, v14, vcc_lo
	v_cmp_ne_u32_e32 vcc_lo, 0, v3
	s_wait_alu 0xfffd
	s_delay_alu instid0(VALU_DEP_3) | instskip(NEXT) | instid1(VALU_DEP_3)
	v_cndmask_b32_e32 v3, v5, v12, vcc_lo
	v_cndmask_b32_e32 v4, v9, v4, vcc_lo
.LBB0_4:                                ;   in Loop: Header=BB0_2 Depth=1
	s_wait_alu 0xfffe
	s_and_not1_saveexec_b32 s2, s26
	s_cbranch_execz .LBB0_6
; %bb.5:                                ;   in Loop: Header=BB0_2 Depth=1
	v_cvt_f32_u32_e32 v3, s24
	s_sub_co_i32 s26, 0, s24
	s_delay_alu instid0(VALU_DEP_1) | instskip(NEXT) | instid1(TRANS32_DEP_1)
	v_rcp_iflag_f32_e32 v3, v3
	v_mul_f32_e32 v3, 0x4f7ffffe, v3
	s_delay_alu instid0(VALU_DEP_1) | instskip(SKIP_1) | instid1(VALU_DEP_1)
	v_cvt_u32_f32_e32 v3, v3
	s_wait_alu 0xfffe
	v_mul_lo_u32 v4, s26, v3
	s_delay_alu instid0(VALU_DEP_1) | instskip(NEXT) | instid1(VALU_DEP_1)
	v_mul_hi_u32 v4, v3, v4
	v_add_nc_u32_e32 v3, v3, v4
	s_delay_alu instid0(VALU_DEP_1) | instskip(NEXT) | instid1(VALU_DEP_1)
	v_mul_hi_u32 v3, v10, v3
	v_mul_lo_u32 v4, v3, s24
	v_add_nc_u32_e32 v5, 1, v3
	s_delay_alu instid0(VALU_DEP_2) | instskip(NEXT) | instid1(VALU_DEP_1)
	v_sub_nc_u32_e32 v4, v10, v4
	v_subrev_nc_u32_e32 v9, s24, v4
	v_cmp_le_u32_e32 vcc_lo, s24, v4
	s_wait_alu 0xfffd
	s_delay_alu instid0(VALU_DEP_2) | instskip(SKIP_1) | instid1(VALU_DEP_2)
	v_cndmask_b32_e32 v4, v4, v9, vcc_lo
	v_cndmask_b32_e32 v3, v3, v5, vcc_lo
	v_cmp_le_u32_e32 vcc_lo, s24, v4
	s_delay_alu instid0(VALU_DEP_2) | instskip(SKIP_1) | instid1(VALU_DEP_1)
	v_dual_mov_b32 v4, v8 :: v_dual_add_nc_u32 v5, 1, v3
	s_wait_alu 0xfffd
	v_cndmask_b32_e32 v3, v3, v5, vcc_lo
.LBB0_6:                                ;   in Loop: Header=BB0_2 Depth=1
	s_wait_alu 0xfffe
	s_or_b32 exec_lo, exec_lo, s2
	v_mul_lo_u32 v5, v4, s24
	s_delay_alu instid0(VALU_DEP_2)
	v_mul_lo_u32 v9, v3, s25
	s_load_b64 s[26:27], s[18:19], 0x0
	v_mad_co_u64_u32 v[12:13], null, v3, s24, 0
	s_load_b64 s[24:25], s[16:17], 0x0
	s_add_nc_u64 s[20:21], s[20:21], 1
	s_add_nc_u64 s[16:17], s[16:17], 8
	s_wait_alu 0xfffe
	v_cmp_ge_u64_e64 s2, s[20:21], s[10:11]
	s_add_nc_u64 s[18:19], s[18:19], 8
	s_add_nc_u64 s[22:23], s[22:23], 8
	v_add3_u32 v5, v13, v9, v5
	v_sub_co_u32 v9, vcc_lo, v10, v12
	s_wait_alu 0xfffd
	s_delay_alu instid0(VALU_DEP_2) | instskip(SKIP_2) | instid1(VALU_DEP_1)
	v_sub_co_ci_u32_e32 v5, vcc_lo, v11, v5, vcc_lo
	s_and_b32 vcc_lo, exec_lo, s2
	s_wait_kmcnt 0x0
	v_mul_lo_u32 v10, s26, v5
	v_mul_lo_u32 v11, s27, v9
	v_mad_co_u64_u32 v[6:7], null, s26, v9, v[6:7]
	v_mul_lo_u32 v5, s24, v5
	v_mul_lo_u32 v12, s25, v9
	v_mad_co_u64_u32 v[1:2], null, s24, v9, v[1:2]
	s_delay_alu instid0(VALU_DEP_4) | instskip(NEXT) | instid1(VALU_DEP_2)
	v_add3_u32 v7, v11, v7, v10
	v_add3_u32 v2, v12, v2, v5
	s_wait_alu 0xfffe
	s_cbranch_vccnz .LBB0_9
; %bb.7:                                ;   in Loop: Header=BB0_2 Depth=1
	v_dual_mov_b32 v11, v4 :: v_dual_mov_b32 v10, v3
	s_branch .LBB0_2
.LBB0_8:
	v_dual_mov_b32 v1, v6 :: v_dual_mov_b32 v2, v7
	v_dual_mov_b32 v3, v10 :: v_dual_mov_b32 v4, v11
.LBB0_9:
	s_load_b64 s[0:1], s[0:1], 0x28
	v_mul_hi_u32 v22, 0x20c49bb, v0
	s_lshl_b64 s[10:11], s[10:11], 3
                                        ; implicit-def: $vgpr8
	s_wait_alu 0xfffe
	s_add_nc_u64 s[2:3], s[14:15], s[10:11]
                                        ; implicit-def: $sgpr14
	s_wait_kmcnt 0x0
	v_cmp_gt_u64_e32 vcc_lo, s[0:1], v[3:4]
	v_cmp_le_u64_e64 s0, s[0:1], v[3:4]
	s_delay_alu instid0(VALU_DEP_1)
	s_and_saveexec_b32 s1, s0
	s_wait_alu 0xfffe
	s_xor_b32 s0, exec_lo, s1
; %bb.10:
	v_mul_u32_u24_e32 v5, 0x7d, v22
	s_mov_b32 s14, 0
                                        ; implicit-def: $vgpr22
                                        ; implicit-def: $vgpr6_vgpr7
	s_delay_alu instid0(VALU_DEP_1)
	v_sub_nc_u32_e32 v8, v0, v5
                                        ; implicit-def: $vgpr0
; %bb.11:
	s_wait_alu 0xfffe
	s_or_saveexec_b32 s1, s0
	s_load_b64 s[2:3], s[2:3], 0x0
	v_mov_b32_e32 v5, s14
                                        ; implicit-def: $vgpr45
                                        ; implicit-def: $vgpr26
                                        ; implicit-def: $vgpr40
                                        ; implicit-def: $vgpr24
                                        ; implicit-def: $vgpr19
                                        ; implicit-def: $vgpr25
                                        ; implicit-def: $vgpr11
                                        ; implicit-def: $vgpr10
                                        ; implicit-def: $vgpr9
                                        ; implicit-def: $vgpr18
                                        ; implicit-def: $vgpr13
                                        ; implicit-def: $vgpr16
                                        ; implicit-def: $vgpr14
                                        ; implicit-def: $vgpr15
                                        ; implicit-def: $vgpr12
                                        ; implicit-def: $vgpr17
                                        ; implicit-def: $vgpr48
                                        ; implicit-def: $vgpr44
                                        ; implicit-def: $vgpr49
                                        ; implicit-def: $vgpr51
                                        ; implicit-def: $vgpr41
                                        ; implicit-def: $vgpr39
                                        ; implicit-def: $vgpr46
                                        ; implicit-def: $vgpr47
                                        ; implicit-def: $vgpr20
                                        ; implicit-def: $vgpr21
                                        ; implicit-def: $vgpr42
                                        ; implicit-def: $vgpr43
	s_xor_b32 exec_lo, exec_lo, s1
	s_cbranch_execz .LBB0_15
; %bb.12:
	s_add_nc_u64 s[10:11], s[12:13], s[10:11]
	v_mul_u32_u24_e32 v11, 0x7d, v22
	s_load_b64 s[10:11], s[10:11], 0x0
                                        ; implicit-def: $vgpr17
                                        ; implicit-def: $vgpr12
                                        ; implicit-def: $vgpr15
                                        ; implicit-def: $vgpr14
                                        ; implicit-def: $vgpr16
                                        ; implicit-def: $vgpr13
                                        ; implicit-def: $vgpr18
	s_wait_kmcnt 0x0
	v_mul_lo_u32 v5, s11, v3
	v_mul_lo_u32 v10, s10, v4
	v_mad_co_u64_u32 v[8:9], null, s10, v3, 0
	s_delay_alu instid0(VALU_DEP_1) | instskip(SKIP_1) | instid1(VALU_DEP_2)
	v_add3_u32 v9, v9, v10, v5
	v_lshlrev_b64_e32 v[5:6], 2, v[6:7]
	v_lshlrev_b64_e32 v[9:10], 2, v[8:9]
	v_sub_nc_u32_e32 v8, v0, v11
                                        ; implicit-def: $vgpr11
	s_delay_alu instid0(VALU_DEP_2) | instskip(SKIP_1) | instid1(VALU_DEP_3)
	v_add_co_u32 v0, s0, s4, v9
	s_wait_alu 0xf1ff
	v_add_co_ci_u32_e64 v7, s0, s5, v10, s0
	s_delay_alu instid0(VALU_DEP_3) | instskip(NEXT) | instid1(VALU_DEP_3)
	v_lshlrev_b32_e32 v9, 2, v8
	v_add_co_u32 v0, s0, v0, v5
	s_wait_alu 0xf1ff
	s_delay_alu instid0(VALU_DEP_3) | instskip(SKIP_1) | instid1(VALU_DEP_2)
	v_add_co_ci_u32_e64 v6, s0, v7, v6, s0
	s_mov_b32 s4, exec_lo
	v_add_co_u32 v5, s0, v0, v9
	s_wait_alu 0xf1ff
	s_delay_alu instid0(VALU_DEP_2)
	v_add_co_ci_u32_e64 v6, s0, 0, v6, s0
                                        ; implicit-def: $vgpr9
                                        ; implicit-def: $vgpr10
	s_clause 0xe
	global_load_b32 v26, v[5:6], off
	global_load_b32 v24, v[5:6], off offset:500
	global_load_b32 v0, v[5:6], off offset:2100
	;; [unrolled: 1-line block ×14, first 2 shown]
	v_cmpx_gt_u32_e32 25, v8
	s_cbranch_execz .LBB0_14
; %bb.13:
	s_clause 0x4
	global_load_b32 v10, v[5:6], off offset:1500
	global_load_b32 v17, v[5:6], off offset:3100
	;; [unrolled: 1-line block ×5, first 2 shown]
	s_wait_loadcnt 0x4
	v_lshrrev_b32_e32 v11, 16, v10
	s_wait_loadcnt 0x3
	v_lshrrev_b32_e32 v12, 16, v17
	;; [unrolled: 2-line block ×5, first 2 shown]
.LBB0_14:
	s_wait_alu 0xfffe
	s_or_b32 exec_lo, exec_lo, s4
	s_wait_loadcnt 0xe
	v_lshrrev_b32_e32 v45, 16, v26
	s_wait_loadcnt 0xd
	v_lshrrev_b32_e32 v40, 16, v24
	;; [unrolled: 2-line block ×3, first 2 shown]
	v_perm_b32 v48, v21, v29, 0x7060302
	s_wait_loadcnt 0x1
	v_perm_b32 v44, v32, v31, 0x7060302
	v_perm_b32 v49, v21, v29, 0x5040100
	;; [unrolled: 1-line block ×7, first 2 shown]
	s_wait_loadcnt 0x0
	v_perm_b32 v20, v30, v22, 0x7060302
	v_perm_b32 v21, v28, v23, 0x7060302
	;; [unrolled: 1-line block ×4, first 2 shown]
	v_mov_b32_e32 v5, v8
.LBB0_15:
	s_or_b32 exec_lo, exec_lo, s1
	v_add_f16_e32 v0, v49, v26
	v_lshrrev_b32_e32 v6, 16, v49
	v_add_f16_e32 v7, v46, v24
	v_lshrrev_b32_e32 v22, 16, v46
	v_lshrrev_b32_e32 v23, 16, v51
	v_add_f16_e32 v28, v16, v15
	v_add_f16_e32 v0, v0, v6
	v_lshrrev_b32_e32 v6, 16, v47
	v_add_f16_e32 v7, v7, v22
	v_sub_f16_e32 v29, v17, v15
	v_sub_f16_e32 v31, v18, v16
	v_add_f16_e32 v32, v18, v17
	v_add_f16_e32 v27, v42, v25
	v_lshrrev_b32_e32 v22, 16, v42
	v_add_f16_e32 v0, v0, v23
	v_add_f16_e32 v23, v10, v17
	;; [unrolled: 1-line block ×3, first 2 shown]
	v_fma_f16 v7, -0.5, v28, v10
	v_add_f16_e32 v29, v31, v29
	v_fmac_f16_e32 v10, -0.5, v32
	v_pk_add_f16 v31, v49, v51
	v_pk_add_f16 v32, v48, v44 neg_lo:[0,1] neg_hi:[0,1]
	v_add_f16_e32 v22, v27, v22
	v_lshrrev_b32_e32 v27, 16, v43
	v_add_f16_e32 v23, v15, v23
	v_sub_f16_e32 v28, v12, v9
	v_pk_fma_f16 v26, v31, 0.5, v26 op_sel_hi:[1,0,0] neg_lo:[1,0,0] neg_hi:[1,0,0]
	v_pk_mul_f16 v31, 0x3b9c, v32 op_sel_hi:[0,1]
	v_add_f16_e32 v30, v6, v47
	v_add_f16_e32 v6, v22, v27
	;; [unrolled: 1-line block ×3, first 2 shown]
	v_sub_f16_e32 v27, v14, v13
	v_fmamk_f16 v22, v28, 0x3b9c, v7
	v_fmac_f16_e32 v7, 0xbb9c, v28
	v_sub_f16_e32 v34, v15, v17
	v_sub_f16_e32 v35, v16, v18
	v_pk_add_f16 v36, v26, v31 op_sel:[0,1] op_sel_hi:[1,0]
	v_pk_add_f16 v26, v26, v31 op_sel:[0,1] op_sel_hi:[1,0] neg_lo:[0,1] neg_hi:[0,1]
	v_add_f16_e32 v33, v6, v43
	v_add_f16_e32 v6, v18, v23
	v_fmamk_f16 v23, v27, 0xbb9c, v10
	v_fmac_f16_e32 v10, 0x3b9c, v27
	v_fmac_f16_e32 v22, 0x38b4, v27
	;; [unrolled: 1-line block ×3, first 2 shown]
	v_add_f16_e32 v27, v35, v34
	v_pk_add_f16 v31, v49, v49 op_sel:[1,0] op_sel_hi:[0,1] neg_lo:[0,1] neg_hi:[0,1]
	v_pk_add_f16 v34, v51, v51 op_sel:[1,0] op_sel_hi:[0,1] neg_lo:[0,1] neg_hi:[0,1]
	v_bfi_b32 v35, 0xffff, v26, v36
	v_fmac_f16_e32 v23, 0x38b4, v28
	v_fmac_f16_e32 v10, 0xb8b4, v28
	;; [unrolled: 1-line block ×4, first 2 shown]
	v_pk_add_f16 v28, v31, v34
	v_pk_fma_f16 v29, 0x38b4, v32, v35 op_sel_hi:[0,1,1]
	v_fmac_f16_e32 v23, 0x34f2, v27
	v_fmac_f16_e32 v10, 0x34f2, v27
	v_pk_add_f16 v27, v46, v47
	v_pk_add_f16 v31, v41, v39 neg_lo:[0,1] neg_hi:[0,1]
	v_pk_fma_f16 v29, 0x34f2, v28, v29 op_sel_hi:[0,1,1]
	v_pk_add_f16 v34, v42, v43
	v_pk_add_f16 v35, v20, v21 neg_lo:[0,1] neg_hi:[0,1]
	v_pk_fma_f16 v27, v27, 0.5, v24 op_sel_hi:[1,0,0] neg_lo:[1,0,0] neg_hi:[1,0,0]
	v_pk_mul_f16 v37, 0x3b9c, v31 op_sel_hi:[0,1]
	v_alignbit_b32 v24, v29, v29, 16
	v_pk_fma_f16 v25, v34, 0.5, v25 op_sel_hi:[1,0,0] neg_lo:[1,0,0] neg_hi:[1,0,0]
	v_pk_mul_f16 v29, 0x3b9c, v35 op_sel_hi:[0,1]
	v_bfi_b32 v26, 0xffff, v36, v26
	v_pk_add_f16 v34, v27, v37 op_sel:[0,1] op_sel_hi:[1,0]
	v_pk_add_f16 v27, v27, v37 op_sel:[0,1] op_sel_hi:[1,0] neg_lo:[0,1] neg_hi:[0,1]
	v_pk_add_f16 v36, v46, v46 op_sel:[1,0] op_sel_hi:[0,1] neg_lo:[0,1] neg_hi:[0,1]
	v_pk_add_f16 v37, v25, v29 op_sel:[0,1] op_sel_hi:[1,0]
	v_pk_add_f16 v25, v25, v29 op_sel:[0,1] op_sel_hi:[1,0] neg_lo:[0,1] neg_hi:[0,1]
	v_pk_add_f16 v29, v47, v47 op_sel:[1,0] op_sel_hi:[0,1] neg_lo:[0,1] neg_hi:[0,1]
	v_bfi_b32 v38, 0xffff, v27, v34
	v_pk_add_f16 v52, v42, v42 op_sel:[1,0] op_sel_hi:[0,1] neg_lo:[0,1] neg_hi:[0,1]
	v_pk_add_f16 v53, v43, v43 op_sel:[1,0] op_sel_hi:[0,1] neg_lo:[0,1] neg_hi:[0,1]
	v_bfi_b32 v54, 0xffff, v25, v37
	v_pk_add_f16 v29, v36, v29
	v_pk_fma_f16 v36, 0x38b4, v31, v38 op_sel_hi:[0,1,1]
	v_bfi_b32 v27, 0xffff, v34, v27
	v_pk_add_f16 v34, v52, v53
	v_pk_fma_f16 v38, 0x38b4, v35, v54 op_sel_hi:[0,1,1]
	v_bfi_b32 v25, 0xffff, v37, v25
	v_pk_fma_f16 v26, 0x38b4, v32, v26 op_sel_hi:[0,1,1] neg_lo:[0,1,0] neg_hi:[0,1,0]
	v_pk_fma_f16 v32, 0x34f2, v29, v36 op_sel_hi:[0,1,1]
	v_pk_fma_f16 v27, 0x38b4, v31, v27 op_sel_hi:[0,1,1] neg_lo:[0,1,0] neg_hi:[0,1,0]
	v_add_f16_e32 v0, v0, v51
	v_mad_u32_u24 v50, v8, 10, 0
	v_pk_fma_f16 v31, 0x34f2, v34, v38 op_sel_hi:[0,1,1]
	v_pk_fma_f16 v35, 0x38b4, v35, v25 op_sel_hi:[0,1,1] neg_lo:[0,1,0] neg_hi:[0,1,0]
	v_cmp_gt_u32_e64 s0, 25, v8
	v_pk_fma_f16 v25, 0x34f2, v28, v26 op_sel_hi:[0,1,1]
	v_alignbit_b32 v26, v32, v32, 16
	v_pk_fma_f16 v27, 0x34f2, v29, v27 op_sel_hi:[0,1,1]
	v_alignbit_b32 v28, v31, v31, 16
	v_pk_fma_f16 v29, 0x34f2, v34, v35 op_sel_hi:[0,1,1]
	ds_store_b16 v50, v0
	ds_store_b64 v50, v[24:25] offset:2
	ds_store_b16 v50, v30 offset:1250
	ds_store_b64 v50, v[26:27] offset:1252
	ds_store_b16 v50, v33 offset:2500
	ds_store_b64 v50, v[28:29] offset:2502
	s_and_saveexec_b32 s1, s0
	s_cbranch_execz .LBB0_17
; %bb.16:
	v_perm_b32 v25, v10, v23, 0x5040100
	v_perm_b32 v24, v22, v6, 0x5040100
	ds_store_b64 v50, v[24:25] offset:3750
	ds_store_b16 v50, v7 offset:3758
.LBB0_17:
	s_wait_alu 0xfffe
	s_or_b32 exec_lo, exec_lo, s1
	v_lshlrev_b32_e32 v0, 3, v8
	global_wb scope:SCOPE_SE
	s_wait_dscnt 0x0
	s_wait_kmcnt 0x0
	s_barrier_signal -1
	s_barrier_wait -1
	global_inv scope:SCOPE_SE
	v_sub_nc_u32_e32 v0, v50, v0
	ds_load_u16 v25, v0
	ds_load_u16 v26, v0 offset:250
	ds_load_u16 v31, v0 offset:1050
	;; [unrolled: 1-line block ×14, first 2 shown]
	s_and_saveexec_b32 s1, s0
	s_cbranch_execz .LBB0_19
; %bb.18:
	ds_load_u16 v6, v0 offset:750
	ds_load_u16 v22, v0 offset:1550
	;; [unrolled: 1-line block ×5, first 2 shown]
.LBB0_19:
	s_wait_alu 0xfffe
	s_or_b32 exec_lo, exec_lo, s1
	v_pk_add_f16 v52, v48, v44
	v_add_f16_e32 v53, v48, v45
	v_pk_add_f16 v49, v49, v51 neg_lo:[0,1] neg_hi:[0,1]
	v_lshrrev_b32_e32 v54, 16, v48
	v_lshrrev_b32_e32 v51, 16, v44
	v_pk_fma_f16 v45, v52, 0.5, v45 op_sel_hi:[1,0,0] neg_lo:[1,0,0] neg_hi:[1,0,0]
	v_pk_add_f16 v48, v48, v48 op_sel:[0,1] op_sel_hi:[1,0] neg_lo:[0,1] neg_hi:[0,1]
	v_pk_add_f16 v52, v44, v44 op_sel:[0,1] op_sel_hi:[1,0] neg_lo:[0,1] neg_hi:[0,1]
	v_add_f16_e32 v55, v41, v40
	v_lshrrev_b32_e32 v57, 16, v41
	v_pk_fma_f16 v56, 0x3b9c, v49, v45 op_sel:[0,0,1] op_sel_hi:[0,1,0] neg_lo:[0,1,0] neg_hi:[0,1,0]
	v_pk_fma_f16 v45, 0x3b9c, v49, v45 op_sel:[0,0,1] op_sel_hi:[0,1,0]
	v_pk_add_f16 v58, v41, v39
	v_add_f16_e32 v53, v53, v54
	v_pk_mul_f16 v49, 0x38b4, v49 op_sel_hi:[0,1]
	v_pk_add_f16 v46, v46, v47 neg_lo:[0,1] neg_hi:[0,1]
	v_bfi_b32 v54, 0xffff, v56, v45
	v_bfi_b32 v45, 0xffff, v45, v56
	v_pk_fma_f16 v40, v58, 0.5, v40 op_sel_hi:[1,0,0] neg_lo:[1,0,0] neg_hi:[1,0,0]
	v_add_f16_e32 v47, v53, v51
	v_pk_add_f16 v48, v48, v52
	v_pk_add_f16 v51, v54, v49 op_sel:[0,1] op_sel_hi:[1,0] neg_lo:[0,1] neg_hi:[0,1]
	v_pk_add_f16 v45, v49, v45 op_sel:[1,0] op_sel_hi:[0,1]
	v_add_f16_e32 v49, v55, v57
	v_lshrrev_b32_e32 v52, 16, v39
	v_pk_fma_f16 v53, 0x3b9c, v46, v40 op_sel:[0,0,1] op_sel_hi:[0,1,0] neg_lo:[0,1,0] neg_hi:[0,1,0]
	v_pk_fma_f16 v40, 0x3b9c, v46, v40 op_sel:[0,0,1] op_sel_hi:[0,1,0]
	v_add_f16_e32 v47, v47, v44
	v_pk_fma_f16 v44, 0x34f2, v48, v51 op_sel_hi:[0,1,1]
	v_pk_fma_f16 v45, 0x34f2, v48, v45 op_sel_hi:[0,1,1]
	v_add_f16_e32 v48, v49, v52
	v_add_f16_e32 v51, v20, v19
	v_lshrrev_b32_e32 v52, 16, v20
	v_pk_add_f16 v55, v20, v21
	v_bfi_b32 v49, 0xffff, v53, v40
	v_pk_mul_f16 v46, 0x38b4, v46 op_sel_hi:[0,1]
	v_pk_add_f16 v41, v41, v41 op_sel:[0,1] op_sel_hi:[1,0] neg_lo:[0,1] neg_hi:[0,1]
	v_pk_add_f16 v54, v39, v39 op_sel:[0,1] op_sel_hi:[1,0] neg_lo:[0,1] neg_hi:[0,1]
	v_bfi_b32 v40, 0xffff, v40, v53
	v_add_f16_e32 v51, v51, v52
	v_lshrrev_b32_e32 v52, 16, v21
	v_pk_add_f16 v42, v42, v43 neg_lo:[0,1] neg_hi:[0,1]
	v_pk_fma_f16 v19, v55, 0.5, v19 op_sel_hi:[1,0,0] neg_lo:[1,0,0] neg_hi:[1,0,0]
	v_pk_add_f16 v43, v49, v46 op_sel:[0,1] op_sel_hi:[1,0] neg_lo:[0,1] neg_hi:[0,1]
	v_pk_add_f16 v41, v41, v54
	v_pk_add_f16 v40, v46, v40 op_sel:[1,0] op_sel_hi:[0,1]
	v_add_f16_e32 v46, v51, v52
	v_pk_fma_f16 v49, 0x3b9c, v42, v19 op_sel:[0,0,1] op_sel_hi:[0,1,0] neg_lo:[0,1,0] neg_hi:[0,1,0]
	v_pk_fma_f16 v51, 0x3b9c, v42, v19 op_sel:[0,0,1] op_sel_hi:[0,1,0]
	v_pk_fma_f16 v19, 0x34f2, v41, v43 op_sel_hi:[0,1,1]
	v_pk_fma_f16 v43, 0x34f2, v41, v40 op_sel_hi:[0,1,1]
	v_add_f16_e32 v46, v46, v21
	v_pk_mul_f16 v41, 0x38b4, v42 op_sel_hi:[0,1]
	v_pk_add_f16 v20, v20, v20 op_sel:[0,1] op_sel_hi:[1,0] neg_lo:[0,1] neg_hi:[0,1]
	v_pk_add_f16 v21, v21, v21 op_sel:[0,1] op_sel_hi:[1,0] neg_lo:[0,1] neg_hi:[0,1]
	v_bfi_b32 v42, 0xffff, v51, v49
	v_add_f16_e32 v48, v48, v39
	v_bfi_b32 v40, 0xffff, v49, v51
	v_add_f16_e32 v39, v13, v14
	v_add_f16_e32 v49, v11, v12
	v_pk_add_f16 v20, v20, v21
	v_pk_add_f16 v21, v41, v42 op_sel:[1,0] op_sel_hi:[0,1]
	v_add_f16_e32 v42, v9, v12
	v_fma_f16 v39, -0.5, v39, v11
	v_sub_f16_e32 v17, v17, v18
	v_pk_add_f16 v18, v40, v41 op_sel:[0,1] op_sel_hi:[1,0] neg_lo:[0,1] neg_hi:[0,1]
	v_add_f16_e32 v41, v14, v49
	v_sub_f16_e32 v16, v15, v16
	v_fmac_f16_e32 v11, -0.5, v42
	v_fmamk_f16 v40, v17, 0xbb9c, v39
	v_pk_fma_f16 v15, 0x34f2, v20, v18 op_sel_hi:[0,1,1]
	v_pk_fma_f16 v18, 0x34f2, v20, v21 op_sel_hi:[0,1,1]
	v_add_f16_e32 v20, v13, v41
	v_sub_f16_e32 v21, v12, v14
	v_sub_f16_e32 v42, v9, v13
	v_fmac_f16_e32 v39, 0x3b9c, v17
	v_fmamk_f16 v41, v16, 0x3b9c, v11
	v_sub_f16_e32 v12, v14, v12
	v_sub_f16_e32 v13, v13, v9
	v_fmac_f16_e32 v11, 0xbb9c, v16
	v_fmac_f16_e32 v40, 0xb8b4, v16
	v_add_f16_e32 v14, v42, v21
	v_fmac_f16_e32 v39, 0x38b4, v16
	v_fmac_f16_e32 v41, 0xb8b4, v17
	v_add_f16_e32 v12, v13, v12
	v_fmac_f16_e32 v11, 0x38b4, v17
	v_add_f16_e32 v9, v9, v20
	v_fmac_f16_e32 v40, 0x34f2, v14
	v_fmac_f16_e32 v39, 0x34f2, v14
	;; [unrolled: 1-line block ×4, first 2 shown]
	v_alignbit_b32 v45, v45, v45, 16
	v_alignbit_b32 v20, v43, v43, 16
	global_wb scope:SCOPE_SE
	s_wait_dscnt 0x0
	s_barrier_signal -1
	s_barrier_wait -1
	global_inv scope:SCOPE_SE
	v_alignbit_b32 v16, v18, v18, 16
	ds_store_b16 v50, v47
	ds_store_b64 v50, v[44:45] offset:2
	ds_store_b16 v50, v48 offset:1250
	ds_store_b64 v50, v[19:20] offset:1252
	ds_store_b16 v50, v46 offset:2500
	ds_store_b64 v50, v[15:16] offset:2502
	s_and_saveexec_b32 s1, s0
	s_cbranch_execz .LBB0_21
; %bb.20:
	v_perm_b32 v13, v11, v41, 0x5040100
	v_perm_b32 v12, v40, v9, 0x5040100
	ds_store_b64 v50, v[12:13] offset:3750
	ds_store_b16 v50, v39 offset:3758
.LBB0_21:
	s_wait_alu 0xfffe
	s_or_b32 exec_lo, exec_lo, s1
	global_wb scope:SCOPE_SE
	s_wait_dscnt 0x0
	s_barrier_signal -1
	s_barrier_wait -1
	global_inv scope:SCOPE_SE
	ds_load_u16 v19, v0
	ds_load_u16 v20, v0 offset:250
	ds_load_u16 v51, v0 offset:1050
	;; [unrolled: 1-line block ×14, first 2 shown]
	s_and_saveexec_b32 s1, s0
	s_cbranch_execz .LBB0_23
; %bb.22:
	ds_load_u16 v9, v0 offset:750
	ds_load_u16 v40, v0 offset:1550
	;; [unrolled: 1-line block ×5, first 2 shown]
.LBB0_23:
	s_wait_alu 0xfffe
	s_or_b32 exec_lo, exec_lo, s1
	v_and_b32_e32 v15, 0xff, v8
	v_add_nc_u16 v14, v8, 0x7d
	v_add_nc_u32_e32 v13, 0x177, v8
	s_delay_alu instid0(VALU_DEP_3) | instskip(NEXT) | instid1(VALU_DEP_3)
	v_mul_lo_u16 v12, 0xcd, v15
	v_and_b32_e32 v18, 0xff, v14
	s_delay_alu instid0(VALU_DEP_2) | instskip(SKIP_1) | instid1(VALU_DEP_3)
	v_lshrrev_b16 v42, 10, v12
	v_add_nc_u32_e32 v12, 0xfa, v8
	v_mul_lo_u16 v43, 0xcd, v18
	s_delay_alu instid0(VALU_DEP_3) | instskip(NEXT) | instid1(VALU_DEP_3)
	v_mul_lo_u16 v16, v42, 5
	v_and_b32_e32 v17, 0xffff, v12
	s_delay_alu instid0(VALU_DEP_3) | instskip(SKIP_1) | instid1(VALU_DEP_4)
	v_lshrrev_b16 v43, 10, v43
	v_and_b32_e32 v42, 0xffff, v42
	v_sub_nc_u16 v45, v8, v16
	v_and_b32_e32 v16, 0xffff, v13
	v_mul_u32_u24_e32 v46, 0xcccd, v17
	v_mul_lo_u16 v59, v43, 5
	v_and_b32_e32 v43, 0xffff, v43
	v_and_b32_e32 v45, 0xff, v45
	v_mul_u32_u24_e32 v47, 0xcccd, v16
	v_lshrrev_b32_e32 v46, 18, v46
	v_sub_nc_u16 v64, v14, v59
	s_delay_alu instid0(VALU_DEP_4) | instskip(NEXT) | instid1(VALU_DEP_4)
	v_lshlrev_b32_e32 v60, 4, v45
	v_lshrrev_b32_e32 v47, 18, v47
	s_delay_alu instid0(VALU_DEP_4) | instskip(NEXT) | instid1(VALU_DEP_4)
	v_mul_lo_u16 v63, v46, 5
	v_and_b32_e32 v64, 0xff, v64
	v_lshlrev_b32_e32 v45, 1, v45
	global_load_b128 v[59:62], v60, s[8:9]
	v_mul_lo_u16 v65, v47, 5
	v_sub_nc_u16 v63, v12, v63
	v_lshlrev_b32_e32 v66, 4, v64
	v_mul_u32_u24_e32 v46, 50, v46
	v_lshlrev_b32_e32 v64, 1, v64
	v_sub_nc_u16 v65, v13, v65
	v_and_b32_e32 v63, 0xffff, v63
	global_load_b128 v[79:82], v66, s[8:9]
	v_and_b32_e32 v65, 0xffff, v65
	v_lshlrev_b32_e32 v67, 4, v63
	v_lshlrev_b32_e32 v63, 1, v63
	s_delay_alu instid0(VALU_DEP_3)
	v_lshlrev_b32_e32 v66, 4, v65
	s_clause 0x1
	global_load_b128 v[83:86], v67, s[8:9]
	global_load_b128 v[87:90], v66, s[8:9]
	v_mul_u32_u24_e32 v66, 50, v42
	v_mul_lo_u16 v42, v47, 25
	v_mul_u32_u24_e32 v47, 50, v43
	v_lshlrev_b32_e32 v43, 1, v65
	v_add3_u32 v46, 0, v46, v63
	v_add3_u32 v45, 0, v66, v45
	global_wb scope:SCOPE_SE
	s_wait_loadcnt_dscnt 0x0
	v_add3_u32 v47, 0, v47, v64
	s_barrier_signal -1
	s_barrier_wait -1
	global_inv scope:SCOPE_SE
	v_lshrrev_b32_e32 v64, 16, v59
	v_lshrrev_b32_e32 v63, 16, v60
	v_lshrrev_b32_e32 v65, 16, v61
	v_lshrrev_b32_e32 v66, 16, v62
	s_delay_alu instid0(VALU_DEP_4)
	v_mul_f16_e32 v70, v56, v64
	v_mul_f16_e32 v69, v36, v64
	;; [unrolled: 1-line block ×8, first 2 shown]
	v_lshrrev_b32_e32 v66, 16, v79
	v_lshrrev_b32_e32 v73, 16, v81
	v_lshrrev_b32_e32 v74, 16, v82
	v_lshrrev_b32_e32 v72, 16, v80
	v_fma_f16 v75, v36, v59, -v70
	v_fmac_f16_e32 v69, v56, v59
	v_lshrrev_b32_e32 v91, 16, v83
	v_lshrrev_b32_e32 v92, 16, v84
	v_lshrrev_b32_e32 v93, 16, v85
	v_lshrrev_b32_e32 v94, 16, v86
	v_lshrrev_b32_e32 v95, 16, v87
	v_lshrrev_b32_e32 v96, 16, v88
	v_lshrrev_b32_e32 v97, 16, v89
	v_lshrrev_b32_e32 v98, 16, v90
	v_fma_f16 v76, v35, v60, -v64
	v_fmac_f16_e32 v71, v55, v60
	v_fma_f16 v77, v38, v61, -v63
	v_fmac_f16_e32 v67, v58, v61
	;; [unrolled: 2-line block ×3, first 2 shown]
	v_mul_f16_e32 v35, v51, v66
	v_mul_f16_e32 v63, v31, v66
	;; [unrolled: 1-line block ×24, first 2 shown]
	v_fma_f16 v73, v31, v79, -v35
	v_fmac_f16_e32 v65, v44, v81
	v_fmac_f16_e32 v66, v53, v82
	v_fma_f16 v53, v28, v83, -v99
	v_fmac_f16_e32 v59, v48, v83
	v_fmac_f16_e32 v61, v52, v85
	v_fma_f16 v52, v29, v86, -v93
	v_fmac_f16_e32 v62, v49, v86
	v_fma_f16 v49, v22, v87, -v94
	v_fma_f16 v44, v23, v88, -v95
	;; [unrolled: 1-line block ×3, first 2 shown]
	v_fmac_f16_e32 v58, v11, v89
	v_fma_f16 v11, v7, v90, -v97
	v_add_f16_e32 v10, v76, v77
	v_sub_f16_e32 v22, v75, v76
	v_sub_f16_e32 v28, v78, v77
	v_add_f16_e32 v29, v75, v78
	v_fmac_f16_e32 v63, v51, v79
	v_fma_f16 v70, v30, v80, -v36
	v_fmac_f16_e32 v64, v50, v80
	v_fma_f16 v72, v24, v81, -v37
	v_fma_f16 v74, v33, v82, -v38
	;; [unrolled: 1-line block ×3, first 2 shown]
	v_fmac_f16_e32 v60, v54, v84
	v_fma_f16 v51, v32, v85, -v92
	v_fmac_f16_e32 v56, v40, v87
	v_fmac_f16_e32 v57, v41, v88
	;; [unrolled: 1-line block ×3, first 2 shown]
	v_add_f16_e32 v7, v25, v75
	v_sub_f16_e32 v23, v69, v68
	v_sub_f16_e32 v24, v71, v67
	v_fma_f16 v32, -0.5, v10, v25
	v_add_f16_e32 v10, v22, v28
	v_fmac_f16_e32 v25, -0.5, v29
	v_add_f16_e32 v22, v26, v73
	v_add_f16_e32 v84, v44, v48
	;; [unrolled: 1-line block ×3, first 2 shown]
	v_sub_f16_e32 v30, v76, v75
	v_sub_f16_e32 v31, v77, v78
	v_add_f16_e32 v29, v70, v72
	v_sub_f16_e32 v33, v73, v70
	v_sub_f16_e32 v34, v74, v72
	v_add_f16_e32 v35, v73, v74
	;; [unrolled: 3-line block ×3, first 2 shown]
	v_add_f16_e32 v80, v53, v52
	v_add_f16_e32 v83, v6, v49
	v_sub_f16_e32 v85, v56, v55
	v_sub_f16_e32 v86, v57, v58
	v_fmamk_f16 v92, v23, 0x3b9c, v32
	v_fmac_f16_e32 v32, 0xbb9c, v23
	v_fmamk_f16 v93, v24, 0xbb9c, v25
	v_fmac_f16_e32 v25, 0x3b9c, v24
	v_add_f16_e32 v94, v22, v70
	v_fma_f16 v22, -0.5, v84, v6
	v_fmac_f16_e32 v6, -0.5, v89
	v_add_f16_e32 v7, v7, v76
	v_add_f16_e32 v28, v30, v31
	v_sub_f16_e32 v30, v63, v66
	v_sub_f16_e32 v31, v64, v65
	v_add_f16_e32 v38, v27, v53
	v_sub_f16_e32 v40, v59, v62
	v_sub_f16_e32 v41, v60, v61
	;; [unrolled: 1-line block ×10, first 2 shown]
	v_fma_f16 v29, -0.5, v29, v26
	v_add_f16_e32 v33, v33, v34
	v_fmac_f16_e32 v26, -0.5, v35
	v_add_f16_e32 v34, v36, v37
	v_fma_f16 v36, -0.5, v39, v27
	v_fmac_f16_e32 v27, -0.5, v80
	v_add_f16_e32 v39, v83, v44
	v_fmac_f16_e32 v92, 0x38b4, v24
	v_fmac_f16_e32 v32, 0xb8b4, v24
	;; [unrolled: 1-line block ×4, first 2 shown]
	v_fmamk_f16 v23, v85, 0x3b9c, v22
	v_fmac_f16_e32 v22, 0xbb9c, v85
	v_fmamk_f16 v24, v86, 0xbb9c, v6
	v_fmac_f16_e32 v6, 0x3b9c, v86
	v_add_f16_e32 v7, v7, v77
	v_add_f16_e32 v35, v38, v50
	;; [unrolled: 1-line block ×6, first 2 shown]
	v_fmamk_f16 v81, v30, 0x3b9c, v29
	v_fmac_f16_e32 v29, 0xbb9c, v30
	v_fmamk_f16 v82, v31, 0xbb9c, v26
	v_fmac_f16_e32 v26, 0x3b9c, v31
	v_fmamk_f16 v83, v40, 0x3b9c, v36
	v_fmac_f16_e32 v36, 0xbb9c, v40
	v_fmamk_f16 v84, v41, 0xbb9c, v27
	v_fmac_f16_e32 v27, 0x3b9c, v41
	v_add_f16_e32 v39, v39, v48
	v_fmac_f16_e32 v23, 0x38b4, v86
	v_fmac_f16_e32 v22, 0xb8b4, v86
	;; [unrolled: 1-line block ×4, first 2 shown]
	v_add_f16_e32 v7, v7, v78
	v_add_f16_e32 v80, v94, v72
	;; [unrolled: 1-line block ×3, first 2 shown]
	v_fmac_f16_e32 v92, 0x34f2, v10
	v_fmac_f16_e32 v32, 0x34f2, v10
	;; [unrolled: 1-line block ×10, first 2 shown]
	v_add_f16_e32 v10, v39, v11
	v_fmac_f16_e32 v23, 0x34f2, v54
	v_fmac_f16_e32 v22, 0x34f2, v54
	;; [unrolled: 1-line block ×6, first 2 shown]
	v_add_f16_e32 v28, v80, v74
	v_add_f16_e32 v30, v35, v52
	v_fmac_f16_e32 v81, 0x34f2, v33
	v_fmac_f16_e32 v29, 0x34f2, v33
	;; [unrolled: 1-line block ×8, first 2 shown]
	ds_store_b16 v45, v7
	ds_store_b16 v45, v92 offset:10
	ds_store_b16 v45, v93 offset:20
	ds_store_b16 v45, v25 offset:30
	ds_store_b16 v45, v32 offset:40
	ds_store_b16 v47, v28
	ds_store_b16 v47, v81 offset:10
	ds_store_b16 v47, v82 offset:20
	ds_store_b16 v47, v26 offset:30
	ds_store_b16 v47, v29 offset:40
	;; [unrolled: 5-line block ×3, first 2 shown]
	s_and_saveexec_b32 s1, s0
	s_cbranch_execz .LBB0_25
; %bb.24:
	v_and_b32_e32 v7, 0xffff, v42
	s_delay_alu instid0(VALU_DEP_1) | instskip(NEXT) | instid1(VALU_DEP_1)
	v_lshlrev_b32_e32 v7, 1, v7
	v_add3_u32 v7, 0, v43, v7
	ds_store_b16 v7, v10
	ds_store_b16 v7, v23 offset:10
	ds_store_b16 v7, v24 offset:20
	;; [unrolled: 1-line block ×4, first 2 shown]
.LBB0_25:
	s_wait_alu 0xfffe
	s_or_b32 exec_lo, exec_lo, s1
	global_wb scope:SCOPE_SE
	s_wait_dscnt 0x0
	s_barrier_signal -1
	s_barrier_wait -1
	global_inv scope:SCOPE_SE
	ds_load_u16 v26, v0
	ds_load_u16 v27, v0 offset:250
	ds_load_u16 v34, v0 offset:1050
	;; [unrolled: 1-line block ×14, first 2 shown]
	v_lshl_add_u32 v7, v8, 1, 0
	s_and_saveexec_b32 s1, s0
	s_cbranch_execz .LBB0_27
; %bb.26:
	ds_load_u16 v23, v0 offset:1550
	ds_load_u16 v24, v0 offset:2350
	;; [unrolled: 1-line block ×5, first 2 shown]
.LBB0_27:
	s_wait_alu 0xfffe
	s_or_b32 exec_lo, exec_lo, s1
	v_add_f16_e32 v41, v19, v69
	v_add_f16_e32 v40, v71, v67
	v_sub_f16_e32 v54, v75, v78
	v_sub_f16_e32 v75, v76, v77
	;; [unrolled: 1-line block ×3, first 2 shown]
	v_add_f16_e32 v41, v41, v71
	v_fma_f16 v77, -0.5, v40, v19
	v_sub_f16_e32 v40, v68, v67
	v_add_f16_e32 v78, v69, v68
	v_sub_f16_e32 v69, v71, v69
	v_add_f16_e32 v41, v41, v67
	v_fmamk_f16 v71, v54, 0xbb9c, v77
	v_fmac_f16_e32 v77, 0x3b9c, v54
	v_sub_f16_e32 v67, v67, v68
	v_add_f16_e32 v40, v76, v40
	v_add_f16_e32 v68, v41, v68
	;; [unrolled: 1-line block ×3, first 2 shown]
	v_fmac_f16_e32 v19, -0.5, v78
	v_fmac_f16_e32 v71, 0xb8b4, v75
	v_fmac_f16_e32 v77, 0x38b4, v75
	v_add_f16_e32 v78, v64, v65
	v_add_f16_e32 v41, v41, v64
	v_fmamk_f16 v76, v75, 0x3b9c, v19
	v_fmac_f16_e32 v71, 0x34f2, v40
	v_add_f16_e32 v67, v69, v67
	v_fmac_f16_e32 v19, 0xbb9c, v75
	v_fma_f16 v69, -0.5, v78, v20
	v_sub_f16_e32 v73, v73, v74
	v_fmac_f16_e32 v77, 0x34f2, v40
	v_add_f16_e32 v40, v41, v65
	v_add_f16_e32 v41, v63, v66
	v_fmac_f16_e32 v76, 0xb8b4, v54
	v_fmac_f16_e32 v19, 0x38b4, v54
	v_fmamk_f16 v54, v73, 0xbb9c, v69
	v_sub_f16_e32 v70, v70, v72
	v_sub_f16_e32 v72, v63, v64
	;; [unrolled: 1-line block ×3, first 2 shown]
	v_fmac_f16_e32 v20, -0.5, v41
	v_fmac_f16_e32 v69, 0x3b9c, v73
	v_sub_f16_e32 v41, v64, v63
	v_sub_f16_e32 v63, v65, v66
	v_add_f16_e32 v64, v60, v61
	v_fmac_f16_e32 v76, 0x34f2, v67
	v_fmac_f16_e32 v19, 0x34f2, v67
	v_add_f16_e32 v67, v40, v66
	v_fmac_f16_e32 v54, 0xb8b4, v70
	v_add_f16_e32 v40, v72, v74
	;; [unrolled: 2-line block ×3, first 2 shown]
	v_add_f16_e32 v63, v21, v59
	v_fma_f16 v64, -0.5, v64, v21
	v_sub_f16_e32 v52, v53, v52
	v_fmac_f16_e32 v54, 0x34f2, v40
	v_fmac_f16_e32 v69, 0x34f2, v40
	v_add_f16_e32 v40, v63, v60
	v_sub_f16_e32 v50, v50, v51
	v_fmamk_f16 v53, v52, 0xbb9c, v64
	v_sub_f16_e32 v51, v59, v60
	v_sub_f16_e32 v63, v62, v61
	v_fmac_f16_e32 v64, 0x3b9c, v52
	v_add_f16_e32 v65, v59, v62
	v_fmamk_f16 v72, v70, 0x3b9c, v20
	v_fmac_f16_e32 v20, 0xbb9c, v70
	v_fmac_f16_e32 v53, 0xb8b4, v50
	v_add_f16_e32 v51, v51, v63
	v_fmac_f16_e32 v64, 0x38b4, v50
	v_fmac_f16_e32 v21, -0.5, v65
	v_fmac_f16_e32 v72, 0xb8b4, v73
	v_fmac_f16_e32 v20, 0x38b4, v73
	v_add_f16_e32 v40, v40, v61
	v_fmac_f16_e32 v53, 0x34f2, v51
	v_fmac_f16_e32 v64, 0x34f2, v51
	v_fmamk_f16 v51, v50, 0x3b9c, v21
	v_fmac_f16_e32 v21, 0xbb9c, v50
	v_fmac_f16_e32 v72, 0x34f2, v41
	;; [unrolled: 1-line block ×3, first 2 shown]
	v_add_f16_e32 v63, v40, v62
	v_add_f16_e32 v40, v57, v58
	v_sub_f16_e32 v41, v60, v59
	v_sub_f16_e32 v59, v61, v62
	v_add_f16_e32 v50, v9, v56
	v_fmac_f16_e32 v51, 0xb8b4, v52
	v_fmac_f16_e32 v21, 0x38b4, v52
	v_add_f16_e32 v52, v56, v55
	v_fma_f16 v40, -0.5, v40, v9
	v_sub_f16_e32 v11, v49, v11
	v_add_f16_e32 v49, v41, v59
	v_add_f16_e32 v50, v50, v57
	v_sub_f16_e32 v48, v44, v48
	v_fmac_f16_e32 v9, -0.5, v52
	v_fmamk_f16 v41, v11, 0xbb9c, v40
	v_fmac_f16_e32 v51, 0x34f2, v49
	v_fmac_f16_e32 v21, 0x34f2, v49
	v_add_f16_e32 v49, v50, v58
	v_sub_f16_e32 v50, v56, v57
	v_sub_f16_e32 v52, v55, v58
	v_fmac_f16_e32 v40, 0x3b9c, v11
	v_fmamk_f16 v44, v48, 0x3b9c, v9
	v_sub_f16_e32 v56, v57, v56
	v_sub_f16_e32 v57, v58, v55
	v_fmac_f16_e32 v9, 0xbb9c, v48
	v_fmac_f16_e32 v41, 0xb8b4, v48
	v_add_f16_e32 v50, v50, v52
	v_fmac_f16_e32 v40, 0x38b4, v48
	v_fmac_f16_e32 v44, 0xb8b4, v11
	v_add_f16_e32 v48, v56, v57
	v_fmac_f16_e32 v9, 0x38b4, v11
	v_add_f16_e32 v11, v49, v55
	v_fmac_f16_e32 v41, 0x34f2, v50
	v_fmac_f16_e32 v40, 0x34f2, v50
	;; [unrolled: 1-line block ×4, first 2 shown]
	global_wb scope:SCOPE_SE
	s_wait_dscnt 0x0
	s_barrier_signal -1
	s_barrier_wait -1
	global_inv scope:SCOPE_SE
	ds_store_b16 v45, v68
	ds_store_b16 v45, v71 offset:10
	ds_store_b16 v45, v76 offset:20
	ds_store_b16 v45, v19 offset:30
	ds_store_b16 v45, v77 offset:40
	ds_store_b16 v47, v67
	ds_store_b16 v47, v54 offset:10
	ds_store_b16 v47, v72 offset:20
	ds_store_b16 v47, v20 offset:30
	ds_store_b16 v47, v69 offset:40
	ds_store_b16 v46, v63
	ds_store_b16 v46, v53 offset:10
	ds_store_b16 v46, v51 offset:20
	ds_store_b16 v46, v21 offset:30
	ds_store_b16 v46, v64 offset:40
	s_and_saveexec_b32 s1, s0
	s_cbranch_execz .LBB0_29
; %bb.28:
	v_and_b32_e32 v19, 0xffff, v42
	s_delay_alu instid0(VALU_DEP_1) | instskip(NEXT) | instid1(VALU_DEP_1)
	v_lshlrev_b32_e32 v19, 1, v19
	v_add3_u32 v19, 0, v43, v19
	ds_store_b16 v19, v11
	ds_store_b16 v19, v41 offset:10
	ds_store_b16 v19, v44 offset:20
	ds_store_b16 v19, v9 offset:30
	ds_store_b16 v19, v40 offset:40
.LBB0_29:
	s_wait_alu 0xfffe
	s_or_b32 exec_lo, exec_lo, s1
	global_wb scope:SCOPE_SE
	s_wait_dscnt 0x0
	s_barrier_signal -1
	s_barrier_wait -1
	global_inv scope:SCOPE_SE
	ds_load_u16 v19, v0
	ds_load_u16 v20, v0 offset:250
	ds_load_u16 v52, v0 offset:1050
	;; [unrolled: 1-line block ×14, first 2 shown]
	s_and_saveexec_b32 s1, s0
	s_cbranch_execz .LBB0_31
; %bb.30:
	ds_load_u16 v41, v0 offset:1550
	ds_load_u16 v44, v0 offset:2350
	;; [unrolled: 1-line block ×5, first 2 shown]
.LBB0_31:
	s_wait_alu 0xfffe
	s_or_b32 exec_lo, exec_lo, s1
	v_mul_lo_u16 v15, v15, 41
	v_mul_lo_u16 v18, v18, 41
	v_mul_u32_u24_e32 v17, 0x47af, v17
	v_mul_u32_u24_e32 v16, 0x47af, v16
	s_delay_alu instid0(VALU_DEP_4) | instskip(NEXT) | instid1(VALU_DEP_4)
	v_lshrrev_b16 v15, 10, v15
	v_lshrrev_b16 v18, 10, v18
	s_delay_alu instid0(VALU_DEP_4) | instskip(NEXT) | instid1(VALU_DEP_4)
	v_lshrrev_b32_e32 v17, 16, v17
	v_lshrrev_b32_e32 v16, 16, v16
	s_delay_alu instid0(VALU_DEP_4) | instskip(NEXT) | instid1(VALU_DEP_4)
	v_mul_lo_u16 v42, v15, 25
	v_mul_lo_u16 v43, v18, 25
	v_and_b32_e32 v15, 0xffff, v15
	s_delay_alu instid0(VALU_DEP_3) | instskip(NEXT) | instid1(VALU_DEP_3)
	v_sub_nc_u16 v42, v8, v42
	v_sub_nc_u16 v14, v14, v43
	s_delay_alu instid0(VALU_DEP_3) | instskip(NEXT) | instid1(VALU_DEP_3)
	v_mul_u32_u24_e32 v15, 0xfa, v15
	v_and_b32_e32 v42, 0xff, v42
	s_delay_alu instid0(VALU_DEP_3) | instskip(NEXT) | instid1(VALU_DEP_2)
	v_and_b32_e32 v14, 0xff, v14
	v_lshlrev_b32_e32 v43, 4, v42
	s_delay_alu instid0(VALU_DEP_2)
	v_lshlrev_b32_e32 v45, 4, v14
	v_lshlrev_b32_e32 v14, 1, v14
	s_clause 0x1
	global_load_b128 v[63:66], v43, s[8:9] offset:80
	global_load_b128 v[67:70], v45, s[8:9] offset:80
	v_sub_nc_u16 v43, v12, v17
	v_sub_nc_u16 v45, v13, v16
	s_delay_alu instid0(VALU_DEP_2) | instskip(NEXT) | instid1(VALU_DEP_2)
	v_lshrrev_b16 v43, 1, v43
	v_lshrrev_b16 v45, 1, v45
	s_delay_alu instid0(VALU_DEP_2) | instskip(NEXT) | instid1(VALU_DEP_2)
	v_add_nc_u16 v17, v43, v17
	v_add_nc_u16 v16, v45, v16
	s_delay_alu instid0(VALU_DEP_2) | instskip(NEXT) | instid1(VALU_DEP_2)
	v_lshrrev_b16 v17, 4, v17
	v_lshrrev_b16 v16, 4, v16
	s_delay_alu instid0(VALU_DEP_2) | instskip(NEXT) | instid1(VALU_DEP_2)
	v_mul_lo_u16 v43, v17, 25
	v_mul_lo_u16 v16, v16, 25
	v_and_b32_e32 v17, 0xffff, v17
	s_delay_alu instid0(VALU_DEP_3) | instskip(NEXT) | instid1(VALU_DEP_3)
	v_sub_nc_u16 v12, v12, v43
	v_sub_nc_u16 v13, v13, v16
	s_delay_alu instid0(VALU_DEP_2) | instskip(NEXT) | instid1(VALU_DEP_2)
	v_and_b32_e32 v12, 0xffff, v12
	v_and_b32_e32 v13, 0xffff, v13
	s_delay_alu instid0(VALU_DEP_2) | instskip(NEXT) | instid1(VALU_DEP_2)
	v_lshlrev_b32_e32 v16, 4, v12
	v_lshlrev_b32_e32 v43, 4, v13
	s_clause 0x1
	global_load_b128 v[71:74], v16, s[8:9] offset:80
	global_load_b128 v[75:78], v43, s[8:9] offset:80
	v_and_b32_e32 v16, 0xffff, v18
	v_lshlrev_b32_e32 v18, 1, v42
	global_wb scope:SCOPE_SE
	s_wait_loadcnt_dscnt 0x0
	s_barrier_signal -1
	s_barrier_wait -1
	v_mul_u32_u24_e32 v16, 0xfa, v16
	v_add3_u32 v43, 0, v15, v18
	v_lshlrev_b32_e32 v15, 1, v12
	v_lshl_add_u32 v12, v13, 1, 0
	global_inv scope:SCOPE_SE
	v_add3_u32 v42, 0, v16, v14
	v_mul_u32_u24_e32 v14, 0xfa, v17
	s_delay_alu instid0(VALU_DEP_1)
	v_add3_u32 v45, 0, v14, v15
	v_lshrrev_b32_e32 v13, 16, v63
	v_lshrrev_b32_e32 v14, 16, v64
	;; [unrolled: 1-line block ×8, first 2 shown]
	v_mul_f16_e32 v80, v55, v13
	v_mul_f16_e32 v60, v37, v13
	;; [unrolled: 1-line block ×16, first 2 shown]
	v_fma_f16 v62, v37, v63, -v80
	v_fmac_f16_e32 v60, v55, v63
	v_fma_f16 v55, v36, v64, -v81
	v_fmac_f16_e32 v61, v54, v64
	v_fma_f16 v63, v39, v65, -v82
	v_fma_f16 v54, v34, v67, -v84
	v_fma_f16 v39, v33, v68, -v17
	v_fmac_f16_e32 v14, v51, v68
	v_fma_f16 v51, v32, v69, -v18
	v_fmac_f16_e32 v15, v50, v69
	v_fma_f16 v50, v35, v70, -v85
	;; [unrolled: 2-line block ×3, first 2 shown]
	v_fmac_f16_e32 v59, v56, v66
	v_fmac_f16_e32 v13, v52, v67
	;; [unrolled: 1-line block ×3, first 2 shown]
	v_add_f16_e32 v18, v55, v63
	v_add_f16_e32 v38, v39, v51
	v_sub_f16_e32 v52, v54, v39
	v_sub_f16_e32 v66, v50, v51
	v_add_f16_e32 v67, v54, v50
	v_sub_f16_e32 v68, v39, v54
	v_sub_f16_e32 v69, v51, v50
	v_lshrrev_b32_e32 v70, 16, v71
	v_lshrrev_b32_e32 v79, 16, v72
	;; [unrolled: 1-line block ×4, first 2 shown]
	v_add_f16_e32 v34, v62, v57
	v_add_f16_e32 v17, v26, v62
	;; [unrolled: 1-line block ×3, first 2 shown]
	v_lshrrev_b32_e32 v83, 16, v76
	v_fma_f16 v87, -0.5, v18, v26
	v_fma_f16 v90, -0.5, v38, v27
	v_add_f16_e32 v66, v52, v66
	v_fmac_f16_e32 v27, -0.5, v67
	v_add_f16_e32 v67, v68, v69
	v_mul_f16_e32 v52, v46, v70
	v_mul_f16_e32 v18, v28, v70
	;; [unrolled: 1-line block ×4, first 2 shown]
	v_sub_f16_e32 v53, v60, v59
	v_sub_f16_e32 v35, v55, v62
	v_sub_f16_e32 v36, v63, v57
	v_lshrrev_b32_e32 v84, 16, v77
	v_mul_f16_e32 v70, v47, v81
	v_sub_f16_e32 v56, v61, v58
	v_sub_f16_e32 v32, v62, v55
	;; [unrolled: 1-line block ×3, first 2 shown]
	v_lshrrev_b32_e32 v82, 16, v75
	v_lshrrev_b32_e32 v85, 16, v78
	v_fmac_f16_e32 v26, -0.5, v34
	v_sub_f16_e32 v64, v13, v16
	v_sub_f16_e32 v65, v14, v15
	v_add_f16_e32 v86, v17, v55
	v_mul_f16_e32 v38, v30, v80
	v_mul_f16_e32 v17, v29, v81
	;; [unrolled: 1-line block ×3, first 2 shown]
	v_fma_f16 v52, v28, v71, -v52
	v_fmac_f16_e32 v18, v46, v71
	v_fma_f16 v28, v31, v72, -v68
	v_fma_f16 v46, v30, v73, -v69
	v_add_f16_e32 v89, v35, v36
	v_add_f16_e32 v36, v37, v39
	v_mul_f16_e32 v37, v31, v79
	v_mul_f16_e32 v81, v9, v84
	;; [unrolled: 1-line block ×3, first 2 shown]
	v_fmamk_f16 v84, v53, 0x3b9c, v87
	v_fma_f16 v29, v29, v74, -v70
	v_add_f16_e32 v88, v32, v33
	v_mul_f16_e32 v79, v41, v82
	v_mul_f16_e32 v33, v23, v82
	;; [unrolled: 1-line block ×4, first 2 shown]
	v_fmamk_f16 v85, v56, 0xbb9c, v26
	v_fmac_f16_e32 v26, 0x3b9c, v56
	v_fmac_f16_e32 v87, 0xbb9c, v53
	v_mul_f16_e32 v34, v24, v83
	v_add_f16_e32 v83, v86, v63
	v_fmamk_f16 v91, v64, 0x3b9c, v90
	v_fmac_f16_e32 v90, 0xbb9c, v64
	v_fmamk_f16 v92, v65, 0xbb9c, v27
	v_fmac_f16_e32 v27, 0x3b9c, v65
	v_fmac_f16_e32 v17, v47, v74
	v_fma_f16 v31, v24, v76, -v80
	v_add_f16_e32 v24, v28, v46
	v_fmac_f16_e32 v37, v49, v72
	v_fmac_f16_e32 v38, v48, v73
	v_fmac_f16_e32 v84, 0x38b4, v56
	v_add_f16_e32 v48, v52, v29
	v_fmac_f16_e32 v85, 0x38b4, v53
	v_fmac_f16_e32 v26, 0xb8b4, v53
	v_fma_f16 v30, v23, v75, -v79
	v_fmac_f16_e32 v87, 0xb8b4, v56
	v_add_f16_e32 v23, v25, v52
	v_add_f16_e32 v86, v36, v51
	v_fmac_f16_e32 v35, v9, v77
	v_fmac_f16_e32 v32, v40, v78
	v_add_f16_e32 v9, v83, v57
	v_fmac_f16_e32 v91, 0x38b4, v65
	v_fmac_f16_e32 v90, 0xb8b4, v65
	v_fmac_f16_e32 v92, 0x38b4, v64
	v_fmac_f16_e32 v27, 0xb8b4, v64
	v_sub_f16_e32 v40, v18, v17
	v_fma_f16 v24, -0.5, v24, v25
	v_fmac_f16_e32 v33, v41, v75
	v_fmac_f16_e32 v84, 0x34f2, v88
	v_sub_f16_e32 v41, v37, v38
	v_fmac_f16_e32 v25, -0.5, v48
	v_fmac_f16_e32 v85, 0x34f2, v89
	v_fmac_f16_e32 v26, 0x34f2, v89
	;; [unrolled: 1-line block ×3, first 2 shown]
	v_add_f16_e32 v23, v23, v28
	v_fmac_f16_e32 v34, v44, v76
	v_fma_f16 v36, v22, v78, -v82
	v_add_f16_e32 v22, v86, v50
	v_fmac_f16_e32 v91, 0x34f2, v66
	v_fmac_f16_e32 v90, 0x34f2, v66
	;; [unrolled: 1-line block ×4, first 2 shown]
	v_sub_f16_e32 v44, v52, v28
	v_sub_f16_e32 v47, v29, v46
	ds_store_b16 v43, v9
	ds_store_b16 v43, v84 offset:50
	ds_store_b16 v43, v85 offset:100
	;; [unrolled: 1-line block ×4, first 2 shown]
	ds_store_b16 v42, v22
	ds_store_b16 v42, v91 offset:50
	ds_store_b16 v42, v92 offset:100
	;; [unrolled: 1-line block ×4, first 2 shown]
	v_fmamk_f16 v9, v40, 0x3b9c, v24
	v_sub_f16_e32 v49, v28, v52
	v_sub_f16_e32 v53, v46, v29
	v_fmamk_f16 v22, v41, 0xbb9c, v25
	v_fmac_f16_e32 v25, 0x3b9c, v41
	v_fmac_f16_e32 v24, 0xbb9c, v40
	v_add_f16_e32 v23, v23, v46
	v_add_f16_e32 v44, v44, v47
	v_fmac_f16_e32 v9, 0x38b4, v41
	v_add_f16_e32 v47, v49, v53
	v_fmac_f16_e32 v22, 0x38b4, v40
	v_fmac_f16_e32 v25, 0xb8b4, v40
	;; [unrolled: 1-line block ×3, first 2 shown]
	v_fma_f16 v6, v6, v77, -v81
	v_add_f16_e32 v23, v23, v29
	v_fmac_f16_e32 v9, 0x34f2, v44
	v_fmac_f16_e32 v22, 0x34f2, v47
	v_fmac_f16_e32 v25, 0x34f2, v47
	v_fmac_f16_e32 v24, 0x34f2, v44
	ds_store_b16 v45, v23
	ds_store_b16 v45, v9 offset:50
	ds_store_b16 v45, v22 offset:100
	;; [unrolled: 1-line block ×4, first 2 shown]
	s_and_saveexec_b32 s1, s0
	s_cbranch_execz .LBB0_33
; %bb.32:
	v_add_f16_e32 v9, v30, v36
	v_add_f16_e32 v23, v31, v6
	v_sub_f16_e32 v26, v33, v32
	v_sub_f16_e32 v25, v34, v35
	;; [unrolled: 1-line block ×3, first 2 shown]
	v_fma_f16 v9, -0.5, v9, v10
	v_fma_f16 v23, -0.5, v23, v10
	v_add_f16_e32 v10, v10, v30
	v_sub_f16_e32 v24, v6, v36
	v_sub_f16_e32 v27, v30, v31
	;; [unrolled: 1-line block ×3, first 2 shown]
	v_fmamk_f16 v44, v26, 0xbb9c, v23
	v_add_f16_e32 v10, v10, v31
	v_fmac_f16_e32 v23, 0x3b9c, v26
	v_fmamk_f16 v40, v25, 0x3b9c, v9
	v_fmac_f16_e32 v9, 0xbb9c, v25
	v_add_f16_e32 v22, v22, v24
	v_add_f16_e32 v10, v10, v6
	;; [unrolled: 1-line block ×3, first 2 shown]
	v_fmac_f16_e32 v23, 0x38b4, v25
	v_fmac_f16_e32 v9, 0x38b4, v26
	;; [unrolled: 1-line block ×4, first 2 shown]
	v_add_f16_e32 v10, v10, v36
	v_fmac_f16_e32 v23, 0x34f2, v24
	v_fmac_f16_e32 v9, 0x34f2, v22
	;; [unrolled: 1-line block ×4, first 2 shown]
	ds_store_b16 v12, v10 offset:3750
	ds_store_b16 v12, v23 offset:3800
	;; [unrolled: 1-line block ×5, first 2 shown]
.LBB0_33:
	s_wait_alu 0xfffe
	s_or_b32 exec_lo, exec_lo, s1
	v_add_f16_e32 v9, v61, v58
	v_add_f16_e32 v10, v19, v60
	v_sub_f16_e32 v22, v62, v57
	v_add_f16_e32 v25, v60, v59
	v_sub_f16_e32 v23, v55, v63
	v_fma_f16 v40, -0.5, v9, v19
	v_sub_f16_e32 v24, v60, v61
	v_sub_f16_e32 v9, v59, v58
	v_add_f16_e32 v10, v10, v61
	v_fmac_f16_e32 v19, -0.5, v25
	v_fmamk_f16 v41, v22, 0xbb9c, v40
	v_fmac_f16_e32 v40, 0x3b9c, v22
	v_sub_f16_e32 v26, v61, v60
	v_add_f16_e32 v9, v24, v9
	v_add_f16_e32 v10, v10, v58
	v_fmac_f16_e32 v41, 0xb8b4, v23
	v_sub_f16_e32 v24, v58, v59
	v_fmamk_f16 v44, v23, 0x3b9c, v19
	v_fmac_f16_e32 v40, 0x38b4, v23
	v_fmac_f16_e32 v19, 0xbb9c, v23
	v_add_f16_e32 v23, v20, v13
	v_add_f16_e32 v47, v10, v59
	v_fmac_f16_e32 v41, 0x34f2, v9
	v_add_f16_e32 v10, v14, v15
	v_add_f16_e32 v24, v26, v24
	;; [unrolled: 3-line block ×3, first 2 shown]
	v_fmac_f16_e32 v44, 0xb8b4, v22
	v_fma_f16 v48, -0.5, v10, v20
	v_fmac_f16_e32 v19, 0x38b4, v22
	v_sub_f16_e32 v22, v39, v51
	v_sub_f16_e32 v23, v13, v14
	v_add_f16_e32 v9, v9, v15
	v_fmac_f16_e32 v20, -0.5, v26
	v_sub_f16_e32 v13, v14, v13
	v_sub_f16_e32 v14, v15, v16
	;; [unrolled: 1-line block ×4, first 2 shown]
	v_add_f16_e32 v39, v9, v16
	v_fmamk_f16 v50, v22, 0x3b9c, v20
	v_add_f16_e32 v9, v37, v38
	v_fmac_f16_e32 v20, 0xbb9c, v22
	v_add_f16_e32 v15, v21, v18
	v_add_f16_e32 v13, v13, v14
	;; [unrolled: 1-line block ×3, first 2 shown]
	v_fmamk_f16 v49, v10, 0xbb9c, v48
	v_fmac_f16_e32 v48, 0x3b9c, v10
	v_fma_f16 v51, -0.5, v9, v21
	v_sub_f16_e32 v9, v52, v29
	v_fmac_f16_e32 v50, 0xb8b4, v10
	v_fmac_f16_e32 v20, 0x38b4, v10
	v_add_f16_e32 v10, v15, v37
	v_sub_f16_e32 v15, v28, v46
	v_fmac_f16_e32 v21, -0.5, v14
	v_fmamk_f16 v52, v9, 0xbb9c, v51
	v_fmac_f16_e32 v50, 0x34f2, v13
	v_fmac_f16_e32 v20, 0x34f2, v13
	v_sub_f16_e32 v13, v18, v37
	v_sub_f16_e32 v14, v17, v38
	v_fmac_f16_e32 v51, 0x3b9c, v9
	v_fmamk_f16 v46, v15, 0x3b9c, v21
	v_sub_f16_e32 v16, v37, v18
	v_sub_f16_e32 v18, v38, v17
	v_fmac_f16_e32 v21, 0xbb9c, v15
	v_fmac_f16_e32 v49, 0xb8b4, v22
	v_add_f16_e32 v23, v23, v25
	v_fmac_f16_e32 v48, 0x38b4, v22
	v_add_f16_e32 v10, v10, v38
	;; [unrolled: 2-line block ×3, first 2 shown]
	v_fmac_f16_e32 v51, 0x38b4, v15
	v_fmac_f16_e32 v46, 0xb8b4, v9
	v_add_f16_e32 v14, v16, v18
	v_fmac_f16_e32 v21, 0x38b4, v9
	v_fmac_f16_e32 v44, 0x34f2, v24
	;; [unrolled: 1-line block ×5, first 2 shown]
	v_add_f16_e32 v37, v10, v17
	v_fmac_f16_e32 v52, 0x34f2, v13
	v_fmac_f16_e32 v51, 0x34f2, v13
	;; [unrolled: 1-line block ×4, first 2 shown]
	global_wb scope:SCOPE_SE
	s_wait_dscnt 0x0
	s_barrier_signal -1
	s_barrier_wait -1
	global_inv scope:SCOPE_SE
	ds_load_u16 v9, v0
	ds_load_u16 v17, v0 offset:250
	ds_load_u16 v25, v0 offset:500
	;; [unrolled: 1-line block ×15, first 2 shown]
	global_wb scope:SCOPE_SE
	s_wait_dscnt 0x0
	s_barrier_signal -1
	s_barrier_wait -1
	global_inv scope:SCOPE_SE
	ds_store_b16 v43, v47
	ds_store_b16 v43, v41 offset:50
	ds_store_b16 v43, v44 offset:100
	ds_store_b16 v43, v19 offset:150
	ds_store_b16 v43, v40 offset:200
	ds_store_b16 v42, v39
	ds_store_b16 v42, v49 offset:50
	ds_store_b16 v42, v50 offset:100
	ds_store_b16 v42, v20 offset:150
	ds_store_b16 v42, v48 offset:200
	;; [unrolled: 5-line block ×3, first 2 shown]
	s_and_saveexec_b32 s1, s0
	s_cbranch_execz .LBB0_35
; %bb.34:
	v_add_f16_e32 v19, v34, v35
	v_add_f16_e32 v20, v11, v33
	v_sub_f16_e32 v21, v30, v36
	v_add_f16_e32 v30, v33, v32
	v_sub_f16_e32 v6, v31, v6
	v_fma_f16 v19, -0.5, v19, v11
	v_add_f16_e32 v20, v20, v34
	v_sub_f16_e32 v31, v33, v34
	v_fmac_f16_e32 v11, -0.5, v30
	v_sub_f16_e32 v36, v32, v35
	v_fmamk_f16 v30, v21, 0xbb9c, v19
	v_sub_f16_e32 v33, v34, v33
	v_sub_f16_e32 v34, v35, v32
	v_add_f16_e32 v20, v20, v35
	v_fmamk_f16 v35, v6, 0x3b9c, v11
	v_fmac_f16_e32 v11, 0xbb9c, v6
	v_fmac_f16_e32 v19, 0x3b9c, v21
	;; [unrolled: 1-line block ×3, first 2 shown]
	v_add_f16_e32 v31, v31, v36
	v_fmac_f16_e32 v35, 0xb8b4, v21
	v_add_f16_e32 v33, v33, v34
	v_fmac_f16_e32 v11, 0x38b4, v21
	v_fmac_f16_e32 v19, 0x38b4, v6
	v_add_f16_e32 v6, v20, v32
	v_fmac_f16_e32 v30, 0x34f2, v31
	v_fmac_f16_e32 v35, 0x34f2, v33
	;; [unrolled: 1-line block ×4, first 2 shown]
	ds_store_b16 v12, v6 offset:3750
	ds_store_b16 v12, v30 offset:3800
	;; [unrolled: 1-line block ×5, first 2 shown]
.LBB0_35:
	s_wait_alu 0xfffe
	s_or_b32 exec_lo, exec_lo, s1
	global_wb scope:SCOPE_SE
	s_wait_dscnt 0x0
	s_barrier_signal -1
	s_barrier_wait -1
	global_inv scope:SCOPE_SE
	s_and_saveexec_b32 s0, vcc_lo
	s_cbranch_execz .LBB0_37
; %bb.36:
	v_mul_u32_u24_e32 v6, 15, v8
	v_mul_lo_u32 v8, s2, v4
	v_lshlrev_b64_e32 v[1:2], 2, v[1:2]
	s_delay_alu instid0(VALU_DEP_3)
	v_lshlrev_b32_e32 v6, 2, v6
	s_clause 0x3
	global_load_b128 v[30:33], v6, s[8:9] offset:496
	global_load_b128 v[34:37], v6, s[8:9] offset:480
	;; [unrolled: 1-line block ×3, first 2 shown]
	global_load_b96 v[19:21], v6, s[8:9] offset:528
	v_mul_lo_u32 v6, s3, v3
	v_mad_co_u64_u32 v[3:4], null, s2, v3, 0
	ds_load_u16 v11, v0 offset:3750
	ds_load_u16 v12, v0 offset:3500
	;; [unrolled: 1-line block ×5, first 2 shown]
	v_add3_u32 v4, v4, v8, v6
	v_mov_b32_e32 v6, 0
	ds_load_u16 v8, v0 offset:2500
	ds_load_u16 v45, v0 offset:2250
	;; [unrolled: 1-line block ×7, first 2 shown]
	v_lshlrev_b64_e32 v[3:4], 2, v[3:4]
	s_delay_alu instid0(VALU_DEP_1) | instskip(SKIP_1) | instid1(VALU_DEP_2)
	v_add_co_u32 v50, vcc_lo, s6, v3
	s_wait_alu 0xfffd
	v_add_co_ci_u32_e32 v51, vcc_lo, s7, v4, vcc_lo
	v_lshlrev_b64_e32 v[3:4], 2, v[5:6]
	s_delay_alu instid0(VALU_DEP_3) | instskip(SKIP_1) | instid1(VALU_DEP_3)
	v_add_co_u32 v1, vcc_lo, v50, v1
	s_wait_alu 0xfffd
	v_add_co_ci_u32_e32 v2, vcc_lo, v51, v2, vcc_lo
	ds_load_u16 v5, v0 offset:1000
	ds_load_u16 v6, v0 offset:500
	;; [unrolled: 1-line block ×3, first 2 shown]
	ds_load_u16 v51, v0
	v_add_co_u32 v0, vcc_lo, v1, v3
	s_wait_alu 0xfffd
	v_add_co_ci_u32_e32 v1, vcc_lo, v2, v4, vcc_lo
	s_wait_loadcnt 0x3
	v_lshrrev_b32_e32 v2, 16, v30
	v_lshrrev_b32_e32 v3, 16, v31
	v_lshrrev_b32_e32 v4, 16, v32
	v_lshrrev_b32_e32 v52, 16, v33
	s_wait_loadcnt 0x2
	v_lshrrev_b32_e32 v53, 16, v34
	v_lshrrev_b32_e32 v54, 16, v35
	v_lshrrev_b32_e32 v55, 16, v36
	v_lshrrev_b32_e32 v56, 16, v37
	;; [unrolled: 5-line block ×3, first 2 shown]
	s_wait_loadcnt 0x0
	v_lshrrev_b32_e32 v61, 16, v19
	v_lshrrev_b32_e32 v62, 16, v20
	;; [unrolled: 1-line block ×3, first 2 shown]
	s_wait_dscnt 0x8
	v_mul_f16_e32 v64, v46, v52
	v_mul_f16_e32 v65, v10, v56
	;; [unrolled: 1-line block ×3, first 2 shown]
	s_wait_dscnt 0x2
	v_mul_f16_e32 v67, v6, v54
	v_mul_f16_e32 v68, v8, v58
	;; [unrolled: 1-line block ×8, first 2 shown]
	s_wait_dscnt 0x1
	v_mul_f16_e32 v71, v50, v53
	v_mul_f16_e32 v72, v45, v57
	;; [unrolled: 1-line block ×19, first 2 shown]
	v_fma_f16 v29, v29, v33, -v64
	v_fmac_f16_e32 v65, v5, v37
	v_fmac_f16_e32 v66, v43, v41
	v_fma_f16 v5, v25, v35, -v67
	v_fma_f16 v25, v28, v39, -v68
	v_fmac_f16_e32 v69, v48, v31
	v_fmac_f16_e32 v70, v12, v20
	;; [unrolled: 1-line block ×4, first 2 shown]
	v_fma_f16 v3, v23, v31, -v3
	v_fma_f16 v6, v27, v20, -v62
	;; [unrolled: 1-line block ×4, first 2 shown]
	v_fmac_f16_e32 v73, v49, v30
	v_fmac_f16_e32 v74, v42, v19
	v_fma_f16 v17, v26, v36, -v75
	v_fma_f16 v20, v22, v40, -v76
	v_fmac_f16_e32 v77, v47, v32
	v_fmac_f16_e32 v78, v11, v21
	;; [unrolled: 1-line block ×4, first 2 shown]
	v_fma_f16 v4, v15, v32, -v4
	v_fma_f16 v7, v18, v21, -v63
	v_fmac_f16_e32 v53, v34, v50
	v_fmac_f16_e32 v57, v38, v45
	v_fma_f16 v2, v13, v30, -v2
	v_fma_f16 v11, v16, v19, -v61
	v_fmac_f16_e32 v52, v33, v46
	v_fma_f16 v10, v10, v37, -v56
	v_fma_f16 v13, v14, v41, -v60
	v_sub_f16_e32 v14, v9, v29
	v_sub_f16_e32 v15, v65, v66
	;; [unrolled: 1-line block ×14, first 2 shown]
	s_wait_dscnt 0x0
	v_sub_f16_e32 v25, v51, v52
	v_sub_f16_e32 v13, v10, v13
	;; [unrolled: 1-line block ×4, first 2 shown]
	v_add_f16_e32 v28, v19, v6
	v_sub_f16_e32 v29, v12, v21
	v_sub_f16_e32 v30, v20, v22
	v_add_f16_e32 v31, v23, v7
	v_add_f16_e32 v32, v24, v11
	;; [unrolled: 1-line block ×3, first 2 shown]
	v_fma_f16 v9, v9, 2.0, -v14
	v_fma_f16 v10, v10, 2.0, -v13
	;; [unrolled: 1-line block ×24, first 2 shown]
	v_fmamk_f16 v25, v27, 0x39a8, v26
	v_fmamk_f16 v35, v30, 0x39a8, v29
	;; [unrolled: 1-line block ×4, first 2 shown]
	v_sub_f16_e32 v10, v9, v10
	v_sub_f16_e32 v18, v13, v18
	;; [unrolled: 1-line block ×8, first 2 shown]
	v_fmamk_f16 v38, v14, 0xb9a8, v6
	v_fmamk_f16 v39, v19, 0xb9a8, v12
	;; [unrolled: 1-line block ×4, first 2 shown]
	v_fmac_f16_e32 v25, 0xb9a8, v28
	v_fmac_f16_e32 v35, 0xb9a8, v31
	;; [unrolled: 1-line block ×4, first 2 shown]
	v_sub_f16_e32 v27, v10, v18
	v_sub_f16_e32 v28, v2, v22
	v_add_f16_e32 v30, v21, v4
	v_add_f16_e32 v31, v3, v15
	v_fma_f16 v9, v9, 2.0, -v10
	v_fma_f16 v3, v5, 2.0, -v3
	;; [unrolled: 1-line block ×8, first 2 shown]
	v_fmac_f16_e32 v38, 0xb9a8, v16
	v_fmac_f16_e32 v39, 0xb9a8, v20
	;; [unrolled: 1-line block ×4, first 2 shown]
	v_fmamk_f16 v14, v35, 0x3b64, v25
	v_fmamk_f16 v17, v28, 0x39a8, v27
	v_fma_f16 v19, v26, 2.0, -v25
	v_fma_f16 v22, v32, 2.0, -v36
	;; [unrolled: 1-line block ×3, first 2 shown]
	v_sub_f16_e32 v3, v9, v3
	v_sub_f16_e32 v11, v5, v11
	;; [unrolled: 1-line block ×4, first 2 shown]
	v_fma_f16 v21, v21, 2.0, -v30
	v_fma_f16 v15, v15, 2.0, -v31
	v_fmamk_f16 v16, v36, 0x3b64, v37
	v_fmamk_f16 v18, v30, 0x39a8, v31
	v_fma_f16 v20, v29, 2.0, -v35
	v_fma_f16 v10, v10, 2.0, -v27
	;; [unrolled: 1-line block ×3, first 2 shown]
	v_fmac_f16_e32 v14, 0xb61f, v36
	v_fmac_f16_e32 v17, 0xb9a8, v30
	v_fmamk_f16 v30, v22, 0xb61f, v26
	v_sub_f16_e32 v33, v3, v11
	v_add_f16_e32 v34, v13, v4
	v_fmamk_f16 v36, v21, 0xb9a8, v15
	v_fma_f16 v6, v6, 2.0, -v38
	v_fma_f16 v12, v12, 2.0, -v39
	;; [unrolled: 1-line block ×8, first 2 shown]
	v_fmac_f16_e32 v16, 0x361f, v35
	v_fmac_f16_e32 v18, 0x39a8, v28
	v_fmamk_f16 v28, v20, 0xb61f, v19
	v_fmamk_f16 v35, v2, 0xb9a8, v10
	v_fmac_f16_e32 v30, 0x3b64, v20
	v_fmac_f16_e32 v36, 0x39a8, v2
	v_fma_f16 v2, v3, 2.0, -v33
	v_fma_f16 v3, v13, 2.0, -v34
	v_fmamk_f16 v13, v12, 0xbb64, v6
	v_fmamk_f16 v20, v23, 0xbb64, v24
	;; [unrolled: 1-line block ×4, first 2 shown]
	v_sub_f16_e32 v4, v9, v4
	v_sub_f16_e32 v5, v7, v5
	v_fma_f16 v8, v25, 2.0, -v14
	v_fma_f16 v11, v37, 2.0, -v16
	v_fmac_f16_e32 v13, 0xb61f, v23
	v_fmac_f16_e32 v20, 0x361f, v12
	;; [unrolled: 1-line block ×6, first 2 shown]
	v_fma_f16 v9, v9, 2.0, -v4
	v_fma_f16 v7, v7, 2.0, -v5
	v_pack_b32_f16 v8, v8, v11
	v_fma_f16 v6, v6, 2.0, -v13
	v_fma_f16 v11, v24, 2.0, -v20
	;; [unrolled: 1-line block ×8, first 2 shown]
	v_pack_b32_f16 v17, v17, v18
	v_pack_b32_f16 v14, v14, v16
	v_fma_f16 v16, v38, 2.0, -v29
	v_fma_f16 v18, v41, 2.0, -v32
	v_pack_b32_f16 v7, v9, v7
	v_pack_b32_f16 v6, v6, v11
	;; [unrolled: 1-line block ×13, first 2 shown]
	s_clause 0xf
	global_store_b32 v[0:1], v7, off
	global_store_b32 v[0:1], v6, off offset:500
	global_store_b32 v[0:1], v9, off offset:1000
	;; [unrolled: 1-line block ×15, first 2 shown]
.LBB0_37:
	s_nop 0
	s_sendmsg sendmsg(MSG_DEALLOC_VGPRS)
	s_endpgm
	.section	.rodata,"a",@progbits
	.p2align	6, 0x0
	.amdhsa_kernel fft_rtc_fwd_len2000_factors_5_5_5_16_wgs_125_tpt_125_halfLds_half_op_CI_CI_unitstride_sbrr_dirReg
		.amdhsa_group_segment_fixed_size 0
		.amdhsa_private_segment_fixed_size 0
		.amdhsa_kernarg_size 104
		.amdhsa_user_sgpr_count 2
		.amdhsa_user_sgpr_dispatch_ptr 0
		.amdhsa_user_sgpr_queue_ptr 0
		.amdhsa_user_sgpr_kernarg_segment_ptr 1
		.amdhsa_user_sgpr_dispatch_id 0
		.amdhsa_user_sgpr_private_segment_size 0
		.amdhsa_wavefront_size32 1
		.amdhsa_uses_dynamic_stack 0
		.amdhsa_enable_private_segment 0
		.amdhsa_system_sgpr_workgroup_id_x 1
		.amdhsa_system_sgpr_workgroup_id_y 0
		.amdhsa_system_sgpr_workgroup_id_z 0
		.amdhsa_system_sgpr_workgroup_info 0
		.amdhsa_system_vgpr_workitem_id 0
		.amdhsa_next_free_vgpr 100
		.amdhsa_next_free_sgpr 39
		.amdhsa_reserve_vcc 1
		.amdhsa_float_round_mode_32 0
		.amdhsa_float_round_mode_16_64 0
		.amdhsa_float_denorm_mode_32 3
		.amdhsa_float_denorm_mode_16_64 3
		.amdhsa_fp16_overflow 0
		.amdhsa_workgroup_processor_mode 1
		.amdhsa_memory_ordered 1
		.amdhsa_forward_progress 0
		.amdhsa_round_robin_scheduling 0
		.amdhsa_exception_fp_ieee_invalid_op 0
		.amdhsa_exception_fp_denorm_src 0
		.amdhsa_exception_fp_ieee_div_zero 0
		.amdhsa_exception_fp_ieee_overflow 0
		.amdhsa_exception_fp_ieee_underflow 0
		.amdhsa_exception_fp_ieee_inexact 0
		.amdhsa_exception_int_div_zero 0
	.end_amdhsa_kernel
	.text
.Lfunc_end0:
	.size	fft_rtc_fwd_len2000_factors_5_5_5_16_wgs_125_tpt_125_halfLds_half_op_CI_CI_unitstride_sbrr_dirReg, .Lfunc_end0-fft_rtc_fwd_len2000_factors_5_5_5_16_wgs_125_tpt_125_halfLds_half_op_CI_CI_unitstride_sbrr_dirReg
                                        ; -- End function
	.section	.AMDGPU.csdata,"",@progbits
; Kernel info:
; codeLenInByte = 11892
; NumSgprs: 41
; NumVgprs: 100
; ScratchSize: 0
; MemoryBound: 0
; FloatMode: 240
; IeeeMode: 1
; LDSByteSize: 0 bytes/workgroup (compile time only)
; SGPRBlocks: 5
; VGPRBlocks: 12
; NumSGPRsForWavesPerEU: 41
; NumVGPRsForWavesPerEU: 100
; Occupancy: 12
; WaveLimiterHint : 1
; COMPUTE_PGM_RSRC2:SCRATCH_EN: 0
; COMPUTE_PGM_RSRC2:USER_SGPR: 2
; COMPUTE_PGM_RSRC2:TRAP_HANDLER: 0
; COMPUTE_PGM_RSRC2:TGID_X_EN: 1
; COMPUTE_PGM_RSRC2:TGID_Y_EN: 0
; COMPUTE_PGM_RSRC2:TGID_Z_EN: 0
; COMPUTE_PGM_RSRC2:TIDIG_COMP_CNT: 0
	.text
	.p2alignl 7, 3214868480
	.fill 96, 4, 3214868480
	.type	__hip_cuid_2ca6cba294687d6e,@object ; @__hip_cuid_2ca6cba294687d6e
	.section	.bss,"aw",@nobits
	.globl	__hip_cuid_2ca6cba294687d6e
__hip_cuid_2ca6cba294687d6e:
	.byte	0                               ; 0x0
	.size	__hip_cuid_2ca6cba294687d6e, 1

	.ident	"AMD clang version 19.0.0git (https://github.com/RadeonOpenCompute/llvm-project roc-6.4.0 25133 c7fe45cf4b819c5991fe208aaa96edf142730f1d)"
	.section	".note.GNU-stack","",@progbits
	.addrsig
	.addrsig_sym __hip_cuid_2ca6cba294687d6e
	.amdgpu_metadata
---
amdhsa.kernels:
  - .args:
      - .actual_access:  read_only
        .address_space:  global
        .offset:         0
        .size:           8
        .value_kind:     global_buffer
      - .offset:         8
        .size:           8
        .value_kind:     by_value
      - .actual_access:  read_only
        .address_space:  global
        .offset:         16
        .size:           8
        .value_kind:     global_buffer
      - .actual_access:  read_only
        .address_space:  global
        .offset:         24
        .size:           8
        .value_kind:     global_buffer
      - .actual_access:  read_only
        .address_space:  global
        .offset:         32
        .size:           8
        .value_kind:     global_buffer
      - .offset:         40
        .size:           8
        .value_kind:     by_value
      - .actual_access:  read_only
        .address_space:  global
        .offset:         48
        .size:           8
        .value_kind:     global_buffer
      - .actual_access:  read_only
        .address_space:  global
        .offset:         56
        .size:           8
        .value_kind:     global_buffer
      - .offset:         64
        .size:           4
        .value_kind:     by_value
      - .actual_access:  read_only
        .address_space:  global
        .offset:         72
        .size:           8
        .value_kind:     global_buffer
      - .actual_access:  read_only
        .address_space:  global
        .offset:         80
        .size:           8
        .value_kind:     global_buffer
      - .actual_access:  read_only
        .address_space:  global
        .offset:         88
        .size:           8
        .value_kind:     global_buffer
      - .actual_access:  write_only
        .address_space:  global
        .offset:         96
        .size:           8
        .value_kind:     global_buffer
    .group_segment_fixed_size: 0
    .kernarg_segment_align: 8
    .kernarg_segment_size: 104
    .language:       OpenCL C
    .language_version:
      - 2
      - 0
    .max_flat_workgroup_size: 125
    .name:           fft_rtc_fwd_len2000_factors_5_5_5_16_wgs_125_tpt_125_halfLds_half_op_CI_CI_unitstride_sbrr_dirReg
    .private_segment_fixed_size: 0
    .sgpr_count:     41
    .sgpr_spill_count: 0
    .symbol:         fft_rtc_fwd_len2000_factors_5_5_5_16_wgs_125_tpt_125_halfLds_half_op_CI_CI_unitstride_sbrr_dirReg.kd
    .uniform_work_group_size: 1
    .uses_dynamic_stack: false
    .vgpr_count:     100
    .vgpr_spill_count: 0
    .wavefront_size: 32
    .workgroup_processor_mode: 1
amdhsa.target:   amdgcn-amd-amdhsa--gfx1201
amdhsa.version:
  - 1
  - 2
...

	.end_amdgpu_metadata
